;; amdgpu-corpus repo=ROCm/rocFFT kind=compiled arch=gfx1030 opt=O3
	.text
	.amdgcn_target "amdgcn-amd-amdhsa--gfx1030"
	.amdhsa_code_object_version 6
	.protected	bluestein_single_fwd_len1573_dim1_sp_op_CI_CI ; -- Begin function bluestein_single_fwd_len1573_dim1_sp_op_CI_CI
	.globl	bluestein_single_fwd_len1573_dim1_sp_op_CI_CI
	.p2align	8
	.type	bluestein_single_fwd_len1573_dim1_sp_op_CI_CI,@function
bluestein_single_fwd_len1573_dim1_sp_op_CI_CI: ; @bluestein_single_fwd_len1573_dim1_sp_op_CI_CI
; %bb.0:
	s_load_dwordx4 s[0:3], s[4:5], 0x28
	v_mul_u32_u24_e32 v1, 0x1cb, v0
	v_mov_b32_e32 v65, 0
	v_lshrrev_b32_e32 v1, 16, v1
	v_add_nc_u32_e32 v64, s6, v1
	s_waitcnt lgkmcnt(0)
	v_cmp_gt_u64_e32 vcc_lo, s[0:1], v[64:65]
	s_and_saveexec_b32 s0, vcc_lo
	s_cbranch_execz .LBB0_15
; %bb.1:
	s_clause 0x1
	s_load_dwordx2 s[14:15], s[4:5], 0x0
	s_load_dwordx2 s[12:13], s[4:5], 0x38
	v_mul_lo_u16 v1, 0x8f, v1
	v_sub_nc_u16 v0, v0, v1
	v_and_b32_e32 v74, 0xffff, v0
	v_cmp_gt_u16_e32 vcc_lo, 0x79, v0
	v_lshlrev_b32_e32 v73, 3, v74
	s_and_saveexec_b32 s1, vcc_lo
	s_cbranch_execz .LBB0_3
; %bb.2:
	s_load_dwordx2 s[6:7], s[4:5], 0x18
	s_waitcnt lgkmcnt(0)
	v_add_co_u32 v21, s0, s14, v73
	v_add_co_ci_u32_e64 v22, null, s15, 0, s0
	v_add_nc_u32_e32 v54, 0x400, v73
	v_add_co_u32 v8, s0, 0x800, v21
	v_add_co_ci_u32_e64 v9, s0, 0, v22, s0
	v_add_co_u32 v10, s0, 0x1000, v21
	v_add_co_ci_u32_e64 v11, s0, 0, v22, s0
	;; [unrolled: 2-line block ×3, first 2 shown]
	v_add_nc_u32_e32 v55, 0xc00, v73
	v_add_nc_u32_e32 v56, 0x1400, v73
	s_load_dwordx4 s[8:11], s[6:7], 0x0
	s_clause 0x2
	global_load_dwordx2 v[0:1], v73, s[14:15]
	global_load_dwordx2 v[2:3], v73, s[14:15] offset:968
	global_load_dwordx2 v[4:5], v73, s[14:15] offset:1936
	v_add_nc_u32_e32 v57, 0x1c00, v73
	v_add_nc_u32_e32 v58, 0x2400, v73
	s_waitcnt lgkmcnt(0)
	v_mad_u64_u32 v[6:7], null, s10, v64, 0
	v_mad_u64_u32 v[12:13], null, s8, v74, 0
	s_mul_i32 s6, s9, 0x3c8
	s_mul_hi_u32 s7, s8, 0x3c8
	s_add_i32 s7, s7, s6
	v_mad_u64_u32 v[16:17], null, s11, v64, v[7:8]
	v_mov_b32_e32 v7, v13
	v_add_co_u32 v17, s0, 0x2000, v21
	v_add_co_ci_u32_e64 v18, s0, 0, v22, s0
	v_mad_u64_u32 v[19:20], null, s9, v74, v[7:8]
	v_mov_b32_e32 v7, v16
	v_add_co_u32 v20, s0, 0x2800, v21
	v_add_co_ci_u32_e64 v21, s0, 0, v22, s0
	v_lshlrev_b64 v[6:7], 3, v[6:7]
	v_mov_b32_e32 v13, v19
	s_clause 0x7
	global_load_dwordx2 v[22:23], v[8:9], off offset:856
	global_load_dwordx2 v[8:9], v[8:9], off offset:1824
	;; [unrolled: 1-line block ×8, first 2 shown]
	v_lshlrev_b64 v[12:13], 3, v[12:13]
	v_add_co_u32 v6, s0, s2, v6
	v_add_co_ci_u32_e64 v7, s0, s3, v7, s0
	s_mul_i32 s2, s8, 0x3c8
	v_add_co_u32 v6, s0, v6, v12
	v_add_co_ci_u32_e64 v7, s0, v7, v13, s0
	v_add_co_u32 v12, s0, v6, s2
	v_add_co_ci_u32_e64 v13, s0, s7, v7, s0
	global_load_dwordx2 v[6:7], v[6:7], off
	v_add_co_u32 v28, s0, v12, s2
	v_add_co_ci_u32_e64 v29, s0, s7, v13, s0
	v_add_co_u32 v18, s0, v28, s2
	v_add_co_ci_u32_e64 v19, s0, s7, v29, s0
	;; [unrolled: 2-line block ×3, first 2 shown]
	s_clause 0x2
	global_load_dwordx2 v[12:13], v[12:13], off
	global_load_dwordx2 v[28:29], v[28:29], off
	global_load_dwordx2 v[18:19], v[18:19], off
	v_add_co_u32 v34, s0, v32, s2
	v_add_co_ci_u32_e64 v35, s0, s7, v33, s0
	global_load_dwordx2 v[32:33], v[32:33], off
	v_add_co_u32 v36, s0, v34, s2
	v_add_co_ci_u32_e64 v37, s0, s7, v35, s0
	global_load_dwordx2 v[34:35], v[34:35], off
	v_add_co_u32 v38, s0, v36, s2
	v_add_co_ci_u32_e64 v39, s0, s7, v37, s0
	global_load_dwordx2 v[36:37], v[36:37], off
	v_add_co_u32 v40, s0, v38, s2
	v_add_co_ci_u32_e64 v41, s0, s7, v39, s0
	global_load_dwordx2 v[38:39], v[38:39], off
	v_add_co_u32 v42, s0, v40, s2
	v_add_co_ci_u32_e64 v43, s0, s7, v41, s0
	global_load_dwordx2 v[40:41], v[40:41], off
	v_add_co_u32 v44, s0, v42, s2
	v_add_co_ci_u32_e64 v45, s0, s7, v43, s0
	global_load_dwordx2 v[42:43], v[42:43], off
	v_add_co_u32 v46, s0, v44, s2
	v_add_co_ci_u32_e64 v47, s0, s7, v45, s0
	global_load_dwordx2 v[44:45], v[44:45], off
	v_add_co_u32 v48, s0, v46, s2
	v_add_co_ci_u32_e64 v49, s0, s7, v47, s0
	global_load_dwordx2 v[46:47], v[46:47], off
	s_clause 0x1
	global_load_dwordx2 v[50:51], v[20:21], off offset:408
	global_load_dwordx2 v[20:21], v[20:21], off offset:1376
	global_load_dwordx2 v[48:49], v[48:49], off
	s_waitcnt vmcnt(14)
	v_mul_f32_e32 v52, v7, v1
	v_mul_f32_e32 v53, v6, v1
	v_fmac_f32_e32 v52, v6, v0
	v_fma_f32 v53, v7, v0, -v53
	s_waitcnt vmcnt(13)
	v_mul_f32_e32 v1, v13, v3
	v_mul_f32_e32 v0, v12, v3
	s_waitcnt vmcnt(12)
	v_mul_f32_e32 v6, v28, v5
	v_mul_f32_e32 v5, v29, v5
	;; [unrolled: 3-line block ×3, first 2 shown]
	v_fmac_f32_e32 v1, v12, v2
	v_fma_f32 v2, v13, v2, -v0
	v_fma_f32 v6, v29, v4, -v6
	v_fmac_f32_e32 v5, v28, v4
	v_fmac_f32_e32 v3, v18, v22
	v_fma_f32 v4, v19, v22, -v7
	s_waitcnt vmcnt(10)
	v_mul_f32_e32 v0, v33, v9
	v_mul_f32_e32 v7, v32, v9
	ds_write2_b64 v73, v[52:53], v[1:2] offset1:121
	s_waitcnt vmcnt(9)
	v_mul_f32_e32 v2, v35, v25
	ds_write2_b64 v54, v[5:6], v[3:4] offset0:114 offset1:235
	s_waitcnt vmcnt(8)
	v_mul_f32_e32 v4, v37, v11
	v_mul_f32_e32 v5, v36, v11
	v_fmac_f32_e32 v0, v32, v8
	v_fma_f32 v1, v33, v8, -v7
	v_mul_f32_e32 v3, v34, v25
	s_waitcnt vmcnt(7)
	v_mul_f32_e32 v6, v39, v27
	v_mul_f32_e32 v7, v38, v27
	v_fmac_f32_e32 v4, v36, v10
	v_fma_f32 v5, v37, v10, -v5
	v_fmac_f32_e32 v2, v34, v24
	s_waitcnt vmcnt(6)
	v_mul_f32_e32 v8, v41, v15
	v_mul_f32_e32 v9, v40, v15
	v_fma_f32 v3, v35, v24, -v3
	v_fmac_f32_e32 v6, v38, v26
	v_fma_f32 v7, v39, v26, -v7
	s_waitcnt vmcnt(5)
	v_mul_f32_e32 v10, v43, v31
	v_mul_f32_e32 v11, v42, v31
	v_fmac_f32_e32 v8, v40, v14
	v_fma_f32 v9, v41, v14, -v9
	s_waitcnt vmcnt(4)
	v_mul_f32_e32 v12, v45, v17
	v_mul_f32_e32 v13, v44, v17
	v_fmac_f32_e32 v10, v42, v30
	s_waitcnt vmcnt(2)
	v_mul_f32_e32 v14, v47, v51
	v_mul_f32_e32 v15, v46, v51
	s_waitcnt vmcnt(0)
	v_mul_f32_e32 v17, v49, v21
	v_mul_f32_e32 v18, v48, v21
	v_fma_f32 v11, v43, v30, -v11
	v_fmac_f32_e32 v12, v44, v16
	v_fma_f32 v13, v45, v16, -v13
	v_fmac_f32_e32 v14, v46, v50
	;; [unrolled: 2-line block ×3, first 2 shown]
	v_fma_f32 v18, v49, v20, -v18
	ds_write2_b64 v55, v[0:1], v[2:3] offset0:100 offset1:221
	ds_write2_b64 v56, v[4:5], v[6:7] offset0:86 offset1:207
	;; [unrolled: 1-line block ×4, first 2 shown]
	ds_write_b64 v73, v[17:18] offset:11616
.LBB0_3:
	s_or_b32 exec_lo, exec_lo, s1
	s_clause 0x1
	s_load_dwordx2 s[2:3], s[4:5], 0x20
	s_load_dwordx2 s[0:1], s[4:5], 0x8
	v_mov_b32_e32 v4, 0
	v_mov_b32_e32 v5, 0
	s_waitcnt lgkmcnt(0)
	s_barrier
	buffer_gl0_inv
                                        ; implicit-def: $vgpr18
                                        ; implicit-def: $vgpr12
                                        ; implicit-def: $vgpr8
                                        ; implicit-def: $vgpr0
                                        ; implicit-def: $vgpr22
                                        ; implicit-def: $vgpr26
	s_and_saveexec_b32 s4, vcc_lo
	s_cbranch_execz .LBB0_5
; %bb.4:
	v_add_nc_u32_e32 v0, 0x400, v73
	v_add_nc_u32_e32 v1, 0xc00, v73
	;; [unrolled: 1-line block ×5, first 2 shown]
	ds_read2_b64 v[4:7], v73 offset1:121
	ds_read2_b64 v[24:27], v0 offset0:114 offset1:235
	ds_read2_b64 v[20:23], v1 offset0:100 offset1:221
	;; [unrolled: 1-line block ×5, first 2 shown]
	ds_read_b64 v[0:1], v73 offset:11616
.LBB0_5:
	s_or_b32 exec_lo, exec_lo, s4
	s_waitcnt lgkmcnt(0)
	v_sub_f32_e32 v51, v7, v1
	v_sub_f32_e32 v54, v6, v0
	v_add_f32_e32 v28, v0, v6
	v_sub_f32_e32 v53, v25, v11
	v_add_f32_e32 v30, v1, v7
	v_mul_f32_e32 v40, 0xbeedf032, v51
	v_mul_f32_e32 v41, 0xbeedf032, v54
	v_add_f32_e32 v29, v10, v24
	v_sub_f32_e32 v56, v24, v10
	v_mul_f32_e32 v42, 0xbf52af12, v53
	v_fmamk_f32 v2, v28, 0x3f62ad3f, v40
	v_fma_f32 v3, 0x3f62ad3f, v30, -v41
	v_add_f32_e32 v31, v11, v25
	v_mul_f32_e32 v43, 0xbf52af12, v56
	v_fmamk_f32 v33, v29, 0x3f116cb1, v42
	v_add_f32_e32 v2, v2, v4
	v_sub_f32_e32 v57, v26, v8
	v_add_f32_e32 v3, v3, v5
	v_fma_f32 v34, 0x3f116cb1, v31, -v43
	v_sub_f32_e32 v62, v20, v14
	v_add_f32_e32 v2, v33, v2
	v_add_f32_e32 v33, v9, v27
	v_mul_f32_e32 v45, 0xbf7e222b, v57
	v_add_f32_e32 v3, v34, v3
	v_add_f32_e32 v35, v15, v21
	v_mul_f32_e32 v47, 0xbf6f5d39, v62
	v_sub_f32_e32 v70, v22, v12
	v_fma_f32 v37, 0x3df6dbef, v33, -v45
	v_sub_f32_e32 v55, v27, v9
	v_mul_f32_e32 v68, 0xbf52af12, v51
	v_fma_f32 v39, 0xbeb58ec6, v35, -v47
	v_mul_f32_e32 v49, 0xbf29c268, v70
	v_add_f32_e32 v3, v37, v3
	v_add_f32_e32 v37, v13, v23
	v_mul_f32_e32 v78, 0xbf52af12, v54
	v_add_f32_e32 v32, v8, v26
	v_mul_f32_e32 v44, 0xbf7e222b, v55
	v_add_f32_e32 v3, v39, v3
	v_fma_f32 v39, 0xbf3f9e67, v37, -v49
	v_sub_f32_e32 v59, v21, v15
	v_mul_f32_e32 v71, 0xbf6f5d39, v53
	v_fma_f32 v52, 0x3f116cb1, v30, -v78
	v_mul_f32_e32 v80, 0xbf6f5d39, v56
	v_add_f32_e32 v3, v39, v3
	v_fmamk_f32 v39, v28, 0x3f116cb1, v68
	v_fmamk_f32 v36, v32, 0x3df6dbef, v44
	v_add_f32_e32 v34, v14, v20
	v_mul_f32_e32 v46, 0xbf6f5d39, v59
	v_sub_f32_e32 v63, v23, v13
	v_add_f32_e32 v39, v39, v4
	v_fmamk_f32 v60, v29, 0xbeb58ec6, v71
	v_add_f32_e32 v52, v52, v5
	v_fma_f32 v61, 0xbeb58ec6, v31, -v80
	v_mul_f32_e32 v72, 0xbe750f2a, v55
	v_mul_f32_e32 v81, 0xbe750f2a, v57
	v_add_f32_e32 v2, v36, v2
	v_fmamk_f32 v38, v34, 0xbeb58ec6, v46
	v_add_f32_e32 v36, v12, v22
	v_mul_f32_e32 v48, 0xbf29c268, v63
	v_add_f32_e32 v60, v60, v39
	v_add_f32_e32 v52, v61, v52
	v_fmamk_f32 v61, v32, 0xbf788fa5, v72
	v_fma_f32 v65, 0xbf788fa5, v33, -v81
	v_mul_f32_e32 v76, 0x3f29c268, v59
	v_mul_f32_e32 v82, 0x3f29c268, v62
	v_add_f32_e32 v2, v38, v2
	v_fmamk_f32 v38, v36, 0xbf3f9e67, v48
	v_sub_f32_e32 v83, v17, v19
	v_sub_f32_e32 v86, v16, v18
	v_add_f32_e32 v60, v61, v60
	v_add_f32_e32 v61, v65, v52
	v_fmamk_f32 v65, v34, 0xbf3f9e67, v76
	v_fma_f32 v66, 0xbf3f9e67, v35, -v82
	v_mul_f32_e32 v79, 0x3f7e222b, v63
	v_mul_f32_e32 v85, 0x3f7e222b, v70
	v_add_f32_e32 v2, v38, v2
	v_add_f32_e32 v38, v18, v16
	v_mul_f32_e32 v50, 0xbe750f2a, v83
	v_add_f32_e32 v39, v19, v17
	v_mul_f32_e32 v52, 0xbe750f2a, v86
	v_add_f32_e32 v60, v65, v60
	v_add_f32_e32 v61, v66, v61
	v_fmamk_f32 v65, v36, 0x3df6dbef, v79
	v_fma_f32 v66, 0x3df6dbef, v37, -v85
	v_mul_f32_e32 v77, 0x3eedf032, v83
	v_mul_f32_e32 v84, 0x3eedf032, v86
	v_fmamk_f32 v58, v38, 0xbf788fa5, v50
	v_fma_f32 v67, 0xbf788fa5, v39, -v52
	v_add_f32_e32 v60, v65, v60
	v_add_f32_e32 v61, v66, v61
	v_fmamk_f32 v69, v38, 0x3f62ad3f, v77
	v_fma_f32 v75, 0x3f62ad3f, v39, -v84
	v_add_f32_e32 v65, v58, v2
	v_add_f32_e32 v66, v67, v3
	;; [unrolled: 1-line block ×4, first 2 shown]
	v_mul_lo_u16 v75, v74, 13
	s_barrier
	buffer_gl0_inv
	s_and_saveexec_b32 s4, vcc_lo
	s_cbranch_execz .LBB0_7
; %bb.6:
	v_mul_f32_e32 v69, 0xbe750f2a, v54
	v_add_f32_e32 v7, v7, v5
	v_add_f32_e32 v6, v6, v4
	v_mul_f32_e32 v88, 0xbe750f2a, v51
	v_mul_f32_e32 v67, 0x3eedf032, v56
	v_fmamk_f32 v87, v30, 0xbf788fa5, v69
	v_mul_f32_e32 v90, 0x3eedf032, v53
	v_add_f32_e32 v7, v25, v7
	v_add_f32_e32 v6, v24, v6
	v_fma_f32 v24, 0xbf788fa5, v28, -v88
	v_mul_f32_e32 v61, 0xbf29c268, v57
	v_fmamk_f32 v89, v31, 0x3f62ad3f, v67
	v_add_f32_e32 v87, v87, v5
	v_mul_f32_e32 v91, 0xbf29c268, v55
	v_fma_f32 v92, 0x3f62ad3f, v29, -v90
	v_add_f32_e32 v24, v24, v4
	v_add_f32_e32 v7, v27, v7
	;; [unrolled: 1-line block ×3, first 2 shown]
	v_mul_f32_e32 v60, 0x3f52af12, v62
	v_fmamk_f32 v25, v33, 0xbf3f9e67, v61
	v_add_f32_e32 v87, v89, v87
	v_fma_f32 v93, 0xbf3f9e67, v32, -v91
	v_add_f32_e32 v24, v92, v24
	v_mul_f32_e32 v26, 0x3f52af12, v59
	v_add_f32_e32 v7, v21, v7
	v_add_f32_e32 v6, v20, v6
	v_mul_f32_e32 v58, 0xbf6f5d39, v70
	v_fmamk_f32 v89, v35, 0x3f116cb1, v60
	v_add_f32_e32 v25, v25, v87
	v_add_f32_e32 v20, v93, v24
	v_fma_f32 v24, 0x3f116cb1, v34, -v26
	v_add_f32_e32 v7, v23, v7
	v_add_f32_e32 v6, v22, v6
	v_mul_f32_e32 v23, 0xbf29c268, v54
	v_fmamk_f32 v87, v37, 0xbeb58ec6, v58
	v_add_f32_e32 v25, v89, v25
	v_add_f32_e32 v20, v24, v20
	;; [unrolled: 1-line block ×4, first 2 shown]
	v_fmamk_f32 v17, v30, 0xbf3f9e67, v23
	v_mul_f32_e32 v24, 0x3f7e222b, v56
	v_add_f32_e32 v21, v87, v25
	v_mul_f32_e32 v22, 0xbf6f5d39, v63
	v_add_f32_e32 v19, v19, v7
	v_add_f32_e32 v18, v18, v6
	;; [unrolled: 1-line block ×3, first 2 shown]
	v_fmamk_f32 v7, v31, 0x3df6dbef, v24
	v_mul_f32_e32 v87, 0xbf52af12, v57
	v_fma_f32 v16, 0xbeb58ec6, v36, -v22
	v_mul_f32_e32 v27, 0x3f7e222b, v83
	v_mul_f32_e32 v89, 0xbf29c268, v51
	v_add_f32_e32 v6, v7, v6
	v_fmamk_f32 v7, v33, 0x3f116cb1, v87
	v_mul_f32_e32 v92, 0x3e750f2a, v62
	v_mul_f32_e32 v25, 0x3f7e222b, v86
	v_add_f32_e32 v16, v16, v20
	v_fma_f32 v20, 0xbf3f9e67, v28, -v89
	v_mul_f32_e32 v93, 0x3f7e222b, v53
	v_fma_f32 v94, 0x3df6dbef, v38, -v27
	v_add_f32_e32 v95, v7, v6
	v_fmamk_f32 v96, v35, 0xbf788fa5, v92
	v_fmamk_f32 v17, v39, 0x3df6dbef, v25
	v_add_f32_e32 v20, v20, v4
	v_fma_f32 v97, 0x3df6dbef, v29, -v93
	v_mul_f32_e32 v98, 0xbf52af12, v55
	v_add_f32_e32 v6, v94, v16
	v_add_f32_e32 v16, v96, v95
	;; [unrolled: 1-line block ×3, first 2 shown]
	v_mul_f32_e32 v95, 0x3eedf032, v70
	v_add_f32_e32 v7, v17, v21
	v_add_f32_e32 v17, v97, v20
	v_fma_f32 v20, 0x3f116cb1, v32, -v98
	v_mul_f32_e32 v94, 0x3e750f2a, v59
	v_add_f32_e32 v12, v12, v18
	v_add_f32_e32 v97, v15, v13
	v_fmamk_f32 v13, v37, 0x3f62ad3f, v95
	v_mul_f32_e32 v99, 0xbf6f5d39, v86
	v_add_f32_e32 v17, v20, v17
	v_fma_f32 v18, 0xbf788fa5, v34, -v94
	v_mul_f32_e32 v96, 0x3eedf032, v63
	v_add_f32_e32 v100, v14, v12
	v_add_f32_e32 v12, v13, v16
	v_fmamk_f32 v13, v39, 0xbeb58ec6, v99
	v_mul_f32_e32 v101, 0xbf6f5d39, v54
	v_add_f32_e32 v15, v18, v17
	v_fma_f32 v17, 0x3f62ad3f, v36, -v96
	v_mul_f32_e32 v103, 0xbf6f5d39, v51
	v_add_f32_e32 v13, v13, v12
	v_fmamk_f32 v12, v30, 0xbeb58ec6, v101
	v_mul_f32_e32 v104, 0x3f29c268, v56
	v_add_f32_e32 v14, v17, v15
	v_fma_f32 v16, 0xbeb58ec6, v28, -v103
	v_mul_f32_e32 v105, 0x3f29c268, v53
	v_add_f32_e32 v12, v12, v5
	v_fmamk_f32 v17, v31, 0xbf3f9e67, v104
	v_mul_f32_e32 v106, 0x3eedf032, v57
	v_mul_f32_e32 v102, 0xbf6f5d39, v83
	v_add_f32_e32 v16, v16, v4
	v_fma_f32 v18, 0xbf3f9e67, v29, -v105
	v_mul_f32_e32 v107, 0x3eedf032, v55
	v_add_f32_e32 v12, v17, v12
	v_fmamk_f32 v17, v33, 0x3f62ad3f, v106
	v_mul_f32_e32 v108, 0xbf7e222b, v62
	v_fma_f32 v15, 0xbeb58ec6, v38, -v102
	v_add_f32_e32 v16, v18, v16
	v_fma_f32 v18, 0x3f62ad3f, v32, -v107
	v_mul_f32_e32 v109, 0xbf7e222b, v59
	v_add_f32_e32 v12, v17, v12
	v_fmamk_f32 v17, v35, 0x3df6dbef, v108
	v_mul_f32_e32 v110, 0x3e750f2a, v70
	v_mul_f32_e32 v54, 0xbf7e222b, v54
	v_add_f32_e32 v16, v18, v16
	v_fma_f32 v18, 0x3df6dbef, v34, -v109
	v_mul_f32_e32 v111, 0x3e750f2a, v63
	v_add_f32_e32 v17, v17, v12
	v_fmamk_f32 v19, v37, 0xbf788fa5, v110
	v_add_f32_e32 v12, v15, v14
	v_fmamk_f32 v15, v30, 0x3df6dbef, v54
	v_mul_f32_e32 v56, 0xbe750f2a, v56
	v_mul_f32_e32 v51, 0xbf7e222b, v51
	v_add_f32_e32 v16, v18, v16
	v_fma_f32 v18, 0xbf788fa5, v36, -v111
	v_add_f32_e32 v14, v19, v17
	v_mul_f32_e32 v112, 0x3f52af12, v86
	v_add_f32_e32 v15, v15, v5
	v_fmamk_f32 v17, v31, 0xbf788fa5, v56
	v_mul_f32_e32 v57, 0x3f6f5d39, v57
	v_fma_f32 v19, 0x3df6dbef, v28, -v51
	v_mul_f32_e32 v53, 0xbe750f2a, v53
	v_add_f32_e32 v16, v18, v16
	v_fmamk_f32 v18, v39, 0x3f116cb1, v112
	v_add_f32_e32 v17, v17, v15
	v_fmamk_f32 v20, v33, 0xbeb58ec6, v57
	v_mul_f32_e32 v62, 0x3eedf032, v62
	v_add_f32_e32 v19, v19, v4
	v_fma_f32 v21, 0xbf788fa5, v29, -v53
	v_mul_f32_e32 v55, 0x3f6f5d39, v55
	v_add_f32_e32 v15, v18, v14
	v_add_f32_e32 v14, v20, v17
	v_fmamk_f32 v17, v35, 0x3f62ad3f, v62
	v_add_f32_e32 v18, v21, v19
	v_fma_f32 v19, 0xbeb58ec6, v32, -v55
	v_mul_f32_e32 v59, 0x3eedf032, v59
	v_mul_f32_e32 v113, 0x3f52af12, v83
	;; [unrolled: 1-line block ×3, first 2 shown]
	v_add_f32_e32 v14, v17, v14
	v_add_f32_e32 v17, v19, v18
	v_fma_f32 v18, 0x3f62ad3f, v34, -v59
	v_mul_f32_e32 v63, 0xbf52af12, v63
	v_fmamk_f32 v19, v37, 0x3f116cb1, v70
	v_fma_f32 v20, 0x3f116cb1, v38, -v113
	v_mul_f32_e32 v86, 0xbf29c268, v86
	v_add_f32_e32 v17, v18, v17
	v_fma_f32 v18, 0x3f116cb1, v36, -v63
	v_add_f32_e32 v19, v19, v14
	v_mul_f32_e32 v83, 0xbf29c268, v83
	v_fmamk_f32 v21, v39, 0xbf3f9e67, v86
	v_add_f32_e32 v14, v20, v16
	v_add_f32_e32 v16, v18, v17
	v_mul_f32_e32 v18, 0x3f116cb1, v30
	v_fma_f32 v20, 0xbf3f9e67, v38, -v83
	v_add_f32_e32 v17, v21, v19
	v_mul_f32_e32 v19, 0x3f116cb1, v28
	v_mul_f32_e32 v21, 0xbeb58ec6, v31
	v_add_f32_e32 v18, v78, v18
	v_add_f32_e32 v16, v20, v16
	v_mul_f32_e32 v20, 0xbeb58ec6, v29
	v_sub_f32_e32 v19, v19, v68
	v_add_f32_e32 v21, v80, v21
	v_add_f32_e32 v18, v18, v5
	v_mul_f32_e32 v68, 0xbf788fa5, v33
	v_sub_f32_e32 v20, v20, v71
	v_add_f32_e32 v19, v19, v4
	v_mul_f32_e32 v71, 0xbf788fa5, v32
	v_add_f32_e32 v18, v21, v18
	v_add_f32_e32 v21, v81, v68
	v_mul_f32_e32 v68, 0xbf3f9e67, v35
	v_add_f32_e32 v19, v20, v19
	v_sub_f32_e32 v20, v71, v72
	v_mul_f32_e32 v71, 0xbf3f9e67, v34
	v_add_f32_e32 v18, v21, v18
	v_add_f32_e32 v21, v82, v68
	v_mul_f32_e32 v68, 0x3df6dbef, v37
	v_add_f32_e32 v19, v20, v19
	v_sub_f32_e32 v20, v71, v76
	;; [unrolled: 6-line block ×3, first 2 shown]
	v_mul_f32_e32 v72, 0x3f62ad3f, v28
	v_add_f32_e32 v18, v21, v18
	v_add_f32_e32 v21, v84, v68
	v_mul_f32_e32 v68, 0x3f62ad3f, v30
	v_add_f32_e32 v20, v20, v19
	v_mul_f32_e32 v76, 0x3f116cb1, v31
	v_mul_f32_e32 v71, 0x3f62ad3f, v38
	v_add_f32_e32 v19, v21, v18
	v_add_f32_e32 v41, v41, v68
	v_mul_f32_e32 v18, 0x3f116cb1, v29
	v_sub_f32_e32 v21, v72, v40
	v_add_f32_e32 v40, v43, v76
	v_mul_f32_e32 v43, 0x3df6dbef, v33
	v_add_f32_e32 v41, v41, v5
	v_sub_f32_e32 v18, v18, v42
	v_add_f32_e32 v21, v21, v4
	v_mul_f32_e32 v42, 0x3df6dbef, v32
	v_sub_f32_e32 v71, v71, v77
	v_add_f32_e32 v40, v40, v41
	v_add_f32_e32 v41, v45, v43
	v_mul_f32_e32 v43, 0xbeb58ec6, v35
	v_add_f32_e32 v18, v18, v21
	v_sub_f32_e32 v21, v42, v44
	v_mul_f32_e32 v42, 0xbeb58ec6, v34
	v_add_f32_e32 v40, v41, v40
	v_add_f32_e32 v41, v47, v43
	v_mul_f32_e32 v43, 0xbf3f9e67, v37
	v_add_f32_e32 v21, v21, v18
	v_sub_f32_e32 v42, v42, v46
	v_add_f32_e32 v18, v71, v20
	v_mul_f32_e32 v20, 0xbf3f9e67, v36
	v_add_f32_e32 v40, v41, v40
	v_add_f32_e32 v41, v49, v43
	v_add_f32_e32 v21, v42, v21
	v_mul_f32_e32 v42, 0xbf788fa5, v39
	v_sub_f32_e32 v20, v20, v48
	v_mul_f32_e32 v43, 0xbf788fa5, v38
	v_fma_f32 v44, 0xbf788fa5, v30, -v69
	v_add_f32_e32 v40, v41, v40
	v_add_f32_e32 v41, v52, v42
	;; [unrolled: 1-line block ×3, first 2 shown]
	v_sub_f32_e32 v42, v43, v50
	v_add_f32_e32 v43, v44, v5
	v_fma_f32 v44, 0x3f62ad3f, v31, -v67
	v_fmac_f32_e32 v88, 0xbf788fa5, v28
	v_add_f32_e32 v21, v41, v40
	v_add_f32_e32 v20, v42, v20
	;; [unrolled: 1-line block ×4, first 2 shown]
	v_fma_f32 v41, 0xbf3f9e67, v33, -v61
	v_add_f32_e32 v42, v88, v4
	v_fmac_f32_e32 v90, 0x3f62ad3f, v29
	v_add_f32_e32 v8, v8, v100
	v_add_f32_e32 v9, v11, v9
	;; [unrolled: 1-line block ×3, first 2 shown]
	v_fma_f32 v40, 0x3f116cb1, v35, -v60
	v_add_f32_e32 v41, v90, v42
	v_fmac_f32_e32 v91, 0xbf3f9e67, v32
	v_add_f32_e32 v8, v10, v8
	v_add_f32_e32 v1, v1, v9
	;; [unrolled: 1-line block ×3, first 2 shown]
	v_fma_f32 v10, 0xbeb58ec6, v37, -v58
	v_add_f32_e32 v11, v91, v41
	v_fmac_f32_e32 v26, 0x3f116cb1, v34
	v_add_f32_e32 v0, v0, v8
	v_fma_f32 v8, 0xbf3f9e67, v30, -v23
	v_add_f32_e32 v9, v10, v9
	v_fma_f32 v10, 0x3df6dbef, v39, -v25
	v_add_f32_e32 v11, v26, v11
	v_fmac_f32_e32 v22, 0xbeb58ec6, v36
	v_add_f32_e32 v8, v8, v5
	v_fma_f32 v23, 0x3df6dbef, v31, -v24
	v_fmac_f32_e32 v89, 0xbf3f9e67, v28
	v_add_f32_e32 v9, v10, v9
	v_add_f32_e32 v10, v22, v11
	v_fmac_f32_e32 v27, 0x3df6dbef, v38
	v_add_f32_e32 v11, v23, v8
	v_fma_f32 v22, 0x3f116cb1, v33, -v87
	v_add_f32_e32 v23, v89, v4
	v_fmac_f32_e32 v93, 0x3df6dbef, v29
	v_add_f32_e32 v8, v27, v10
	v_fma_f32 v10, 0xbeb58ec6, v30, -v101
	v_add_f32_e32 v11, v22, v11
	v_fma_f32 v22, 0xbf788fa5, v35, -v92
	v_add_f32_e32 v23, v93, v23
	v_fmac_f32_e32 v98, 0x3f116cb1, v32
	v_add_f32_e32 v10, v10, v5
	v_fma_f32 v24, 0xbf3f9e67, v31, -v104
	;; [unrolled: 6-line block ×4, first 2 shown]
	v_add_f32_e32 v11, v22, v11
	v_fmac_f32_e32 v102, 0xbeb58ec6, v38
	v_add_f32_e32 v22, v96, v23
	v_fmac_f32_e32 v103, 0xbeb58ec6, v28
	;; [unrolled: 2-line block ×3, first 2 shown]
	v_fma_f32 v24, 0xbf788fa5, v37, -v110
	v_add_f32_e32 v10, v102, v22
	v_fma_f32 v22, 0x3df6dbef, v30, -v54
	v_add_f32_e32 v25, v103, v4
	v_fmac_f32_e32 v105, 0xbf3f9e67, v29
	v_add_f32_e32 v4, v51, v4
	v_fmac_f32_e32 v53, 0xbf788fa5, v29
	v_add_f32_e32 v5, v22, v5
	v_fma_f32 v22, 0xbf788fa5, v31, -v56
	v_add_f32_e32 v23, v24, v23
	v_add_f32_e32 v24, v105, v25
	v_fmac_f32_e32 v107, 0x3f62ad3f, v32
	v_add_f32_e32 v4, v53, v4
	v_add_f32_e32 v5, v22, v5
	v_fma_f32 v22, 0xbeb58ec6, v33, -v57
	v_fmac_f32_e32 v55, 0xbeb58ec6, v32
	v_add_f32_e32 v24, v107, v24
	v_fmac_f32_e32 v109, 0x3df6dbef, v34
	v_fmac_f32_e32 v59, 0x3f62ad3f, v34
	v_add_f32_e32 v5, v22, v5
	v_fma_f32 v22, 0x3f62ad3f, v35, -v62
	v_add_f32_e32 v4, v55, v4
	v_add_f32_e32 v24, v109, v24
	v_fmac_f32_e32 v111, 0xbf788fa5, v36
	v_fmac_f32_e32 v63, 0x3f116cb1, v36
	v_add_f32_e32 v5, v22, v5
	v_fma_f32 v22, 0x3f116cb1, v37, -v70
	v_add_f32_e32 v4, v59, v4
	v_mov_b32_e32 v26, 3
	v_fma_f32 v25, 0x3f116cb1, v39, -v112
	v_add_f32_e32 v24, v111, v24
	v_fmac_f32_e32 v113, 0x3f116cb1, v38
	v_add_f32_e32 v22, v22, v5
	v_fma_f32 v27, 0xbf3f9e67, v39, -v86
	v_add_f32_e32 v28, v63, v4
	v_fmac_f32_e32 v83, 0xbf3f9e67, v38
	v_lshlrev_b32_sdwa v26, v26, v75 dst_sel:DWORD dst_unused:UNUSED_PAD src0_sel:DWORD src1_sel:WORD_0
	v_add_f32_e32 v5, v25, v23
	v_add_f32_e32 v4, v113, v24
	;; [unrolled: 1-line block ×4, first 2 shown]
	ds_write2_b64 v26, v[0:1], v[20:21] offset1:1
	ds_write2_b64 v26, v[18:19], v[16:17] offset0:2 offset1:3
	ds_write2_b64 v26, v[14:15], v[12:13] offset0:4 offset1:5
	;; [unrolled: 1-line block ×5, first 2 shown]
	ds_write_b64 v26, v[65:66] offset:96
.LBB0_7:
	s_or_b32 exec_lo, exec_lo, s4
	v_and_b32_e32 v0, 0xff, v74
	s_load_dwordx4 s[4:7], s[2:3], 0x0
	s_waitcnt lgkmcnt(0)
	s_barrier
	buffer_gl0_inv
	v_mul_lo_u16 v0, 0x4f, v0
	v_add_nc_u32_e32 v69, 0x800, v73
	v_add_nc_u32_e32 v68, 0x1000, v73
	;; [unrolled: 1-line block ×3, first 2 shown]
	v_mov_b32_e32 v40, 0x8f
	v_lshrrev_b16 v1, 10, v0
	v_add_nc_u32_e32 v70, 0x2200, v73
	v_mad_u64_u32 v[46:47], null, 0x50, v74, s[0:1]
	v_mul_lo_u16 v0, v1, 13
	v_mul_u32_u24_sdwa v1, v1, v40 dst_sel:DWORD dst_unused:UNUSED_PAD src0_sel:WORD_0 src1_sel:DWORD
	v_sub_nc_u16 v0, v74, v0
	v_and_b32_e32 v0, 0xff, v0
	v_mul_u32_u24_e32 v4, 10, v0
	v_add_lshl_u32 v76, v1, v0, 3
	v_lshlrev_b32_e32 v12, 3, v4
	s_clause 0x4
	global_load_dwordx4 v[20:23], v12, s[0:1]
	global_load_dwordx4 v[16:19], v12, s[0:1] offset:16
	global_load_dwordx4 v[8:11], v12, s[0:1] offset:32
	global_load_dwordx4 v[4:7], v12, s[0:1] offset:48
	global_load_dwordx4 v[12:15], v12, s[0:1] offset:64
	ds_read2_b64 v[24:27], v73 offset1:143
	ds_read2_b64 v[28:31], v69 offset0:30 offset1:173
	ds_read2_b64 v[32:35], v68 offset0:60 offset1:203
	ds_read2_b64 v[36:39], v67 offset0:90 offset1:233
	ds_read_b64 v[44:45], v73 offset:11440
	ds_read2_b64 v[40:43], v70 offset0:56 offset1:199
	s_waitcnt vmcnt(0) lgkmcnt(0)
	s_barrier
	buffer_gl0_inv
	v_mul_f32_e32 v0, v27, v21
	v_mul_f32_e32 v1, v26, v21
	;; [unrolled: 1-line block ×11, first 2 shown]
	v_fma_f32 v0, v26, v20, -v0
	v_fmac_f32_e32 v1, v27, v20
	v_mul_f32_e32 v50, v31, v17
	v_mul_f32_e32 v51, v30, v17
	;; [unrolled: 1-line block ×9, first 2 shown]
	v_fma_f32 v26, v28, v22, -v48
	v_fmac_f32_e32 v49, v29, v22
	v_fma_f32 v28, v32, v18, -v52
	v_fmac_f32_e32 v53, v33, v18
	v_fma_f32 v29, v34, v8, -v54
	v_fma_f32 v32, v40, v6, -v60
	;; [unrolled: 1-line block ×4, first 2 shown]
	v_fmac_f32_e32 v72, v45, v14
	v_add_f32_e32 v33, v24, v0
	v_add_f32_e32 v34, v25, v1
	v_fma_f32 v27, v30, v16, -v50
	v_fmac_f32_e32 v51, v31, v16
	v_fmac_f32_e32 v55, v35, v8
	v_fma_f32 v30, v36, v10, -v56
	v_fmac_f32_e32 v57, v37, v10
	v_fma_f32 v31, v38, v4, -v58
	v_fmac_f32_e32 v59, v39, v4
	v_fmac_f32_e32 v61, v41, v6
	;; [unrolled: 1-line block ×3, first 2 shown]
	v_add_f32_e32 v35, v0, v42
	v_add_f32_e32 v36, v1, v72
	v_sub_f32_e32 v0, v0, v42
	v_sub_f32_e32 v1, v1, v72
	v_add_f32_e32 v37, v26, v40
	v_sub_f32_e32 v39, v26, v40
	v_add_f32_e32 v26, v33, v26
	v_add_f32_e32 v33, v34, v49
	;; [unrolled: 1-line block ×3, first 2 shown]
	v_sub_f32_e32 v41, v49, v63
	v_add_f32_e32 v43, v27, v32
	v_sub_f32_e32 v45, v27, v32
	v_sub_f32_e32 v48, v51, v61
	;; [unrolled: 1-line block ×6, first 2 shown]
	v_mul_f32_e32 v34, 0xbf0a6770, v1
	v_mul_f32_e32 v49, 0xbf0a6770, v0
	;; [unrolled: 1-line block ×10, first 2 shown]
	v_add_f32_e32 v26, v26, v27
	v_add_f32_e32 v27, v33, v51
	;; [unrolled: 1-line block ×7, first 2 shown]
	v_mul_f32_e32 v83, 0xbf68dda4, v41
	v_mul_f32_e32 v84, 0xbf68dda4, v39
	v_mul_f32_e32 v85, 0xbf4178ce, v41
	v_mul_f32_e32 v86, 0xbf4178ce, v39
	v_mul_f32_e32 v87, 0x3e903f40, v41
	v_mul_f32_e32 v88, 0x3e903f40, v39
	v_mul_f32_e32 v89, 0x3f7d64f0, v41
	v_mul_f32_e32 v90, 0x3f7d64f0, v39
	v_mul_f32_e32 v41, 0x3f0a6770, v41
	v_mul_f32_e32 v39, 0x3f0a6770, v39
	v_mul_f32_e32 v91, 0xbf7d64f0, v48
	v_mul_f32_e32 v92, 0xbf7d64f0, v45
	v_mul_f32_e32 v93, 0x3e903f40, v48
	v_mul_f32_e32 v94, 0x3e903f40, v45
	v_mul_f32_e32 v95, 0x3f68dda4, v48
	v_mul_f32_e32 v96, 0x3f68dda4, v45
	v_mul_f32_e32 v97, 0xbf0a6770, v48
	v_mul_f32_e32 v98, 0xbf0a6770, v45
	v_mul_f32_e32 v48, 0xbf4178ce, v48
	v_mul_f32_e32 v45, 0xbf4178ce, v45
	v_mul_f32_e32 v99, 0xbf4178ce, v50
	v_mul_f32_e32 v100, 0x3f7d64f0, v50
	v_mul_f32_e32 v101, 0xbf0a6770, v50
	v_mul_f32_e32 v102, 0xbe903f40, v50
	v_mul_f32_e32 v50, 0x3f68dda4, v50
	v_mul_f32_e32 v103, 0xbf4178ce, v54
	v_mul_f32_e32 v104, 0x3f7d64f0, v54
	v_mul_f32_e32 v105, 0xbf0a6770, v54
	v_mul_f32_e32 v106, 0xbe903f40, v54
	v_mul_f32_e32 v54, 0x3f68dda4, v54
	v_mul_f32_e32 v107, 0xbe903f40, v58
	v_mul_f32_e32 v108, 0x3f0a6770, v58
	v_mul_f32_e32 v109, 0xbf4178ce, v58
	v_mul_f32_e32 v110, 0x3f68dda4, v58
	v_mul_f32_e32 v58, 0xbf7d64f0, v58
	v_mul_f32_e32 v111, 0xbe903f40, v62
	v_mul_f32_e32 v112, 0x3f0a6770, v62
	v_mul_f32_e32 v113, 0xbf4178ce, v62
	v_mul_f32_e32 v114, 0x3f68dda4, v62
	v_mul_f32_e32 v62, 0xbf7d64f0, v62
	v_fma_f32 v33, 0x3f575c64, v35, -v34
	v_fmamk_f32 v51, v36, 0x3f575c64, v49
	v_fmac_f32_e32 v34, 0x3f575c64, v35
	v_fma_f32 v49, 0x3f575c64, v36, -v49
	v_fma_f32 v115, 0x3ed4b147, v35, -v77
	v_fmamk_f32 v116, v36, 0x3ed4b147, v78
	v_fmac_f32_e32 v77, 0x3ed4b147, v35
	v_fma_f32 v78, 0x3ed4b147, v36, -v78
	;; [unrolled: 4-line block ×5, first 2 shown]
	v_add_f32_e32 v26, v26, v28
	v_add_f32_e32 v27, v27, v53
	v_fma_f32 v35, 0x3ed4b147, v37, -v83
	v_fmamk_f32 v36, v38, 0x3ed4b147, v84
	v_fmac_f32_e32 v83, 0x3ed4b147, v37
	v_fma_f32 v84, 0x3ed4b147, v38, -v84
	v_fma_f32 v123, 0xbf27a4f4, v37, -v85
	v_fmamk_f32 v124, v38, 0xbf27a4f4, v86
	v_fmac_f32_e32 v85, 0xbf27a4f4, v37
	v_fma_f32 v86, 0xbf27a4f4, v38, -v86
	;; [unrolled: 4-line block ×9, first 2 shown]
	v_fma_f32 v137, 0xbf27a4f4, v43, -v48
	v_fmac_f32_e32 v48, 0xbf27a4f4, v43
	v_fmamk_f32 v43, v44, 0xbf27a4f4, v45
	v_fma_f32 v44, 0xbf27a4f4, v44, -v45
	v_fma_f32 v45, 0xbf27a4f4, v52, -v99
	v_fmac_f32_e32 v99, 0xbf27a4f4, v52
	v_fma_f32 v138, 0xbe11bafb, v52, -v100
	v_fmac_f32_e32 v100, 0xbe11bafb, v52
	;; [unrolled: 2-line block ×5, first 2 shown]
	v_fmamk_f32 v52, v56, 0xbf27a4f4, v103
	v_fma_f32 v103, 0xbf27a4f4, v56, -v103
	v_fmamk_f32 v142, v56, 0xbe11bafb, v104
	v_fma_f32 v104, 0xbe11bafb, v56, -v104
	;; [unrolled: 2-line block ×5, first 2 shown]
	v_fma_f32 v56, 0xbf75a155, v60, -v107
	v_fmac_f32_e32 v107, 0xbf75a155, v60
	v_fma_f32 v146, 0x3f575c64, v60, -v108
	v_fmac_f32_e32 v108, 0x3f575c64, v60
	;; [unrolled: 2-line block ×5, first 2 shown]
	v_fmamk_f32 v60, v71, 0xbf75a155, v111
	v_fma_f32 v111, 0xbf75a155, v71, -v111
	v_fmamk_f32 v150, v71, 0x3f575c64, v112
	v_fma_f32 v112, 0x3f575c64, v71, -v112
	;; [unrolled: 2-line block ×5, first 2 shown]
	v_add_f32_e32 v33, v24, v33
	v_add_f32_e32 v51, v25, v51
	;; [unrolled: 1-line block ×110, first 2 shown]
	ds_write2_b64 v76, v[26:27], v[30:31] offset0:26 offset1:39
	v_add_f32_e32 v26, v43, v42
	v_add_f32_e32 v27, v44, v72
	ds_write2_b64 v76, v[34:35], v[38:39] offset0:52 offset1:65
	ds_write2_b64 v76, v[40:41], v[36:37] offset0:78 offset1:91
	;; [unrolled: 1-line block ×3, first 2 shown]
	ds_write_b64 v76, v[24:25] offset:1040
	ds_write2_b64 v76, v[26:27], v[0:1] offset1:13
	s_waitcnt lgkmcnt(0)
	s_barrier
	buffer_gl0_inv
	s_clause 0x4
	global_load_dwordx4 v[40:43], v[46:47], off offset:1040
	global_load_dwordx4 v[36:39], v[46:47], off offset:1056
	;; [unrolled: 1-line block ×5, first 2 shown]
	ds_read2_b64 v[44:47], v73 offset1:143
	ds_read2_b64 v[77:80], v69 offset0:30 offset1:173
	ds_read2_b64 v[81:84], v68 offset0:60 offset1:203
	;; [unrolled: 1-line block ×4, first 2 shown]
	ds_read_b64 v[58:59], v73 offset:11440
	s_waitcnt vmcnt(4) lgkmcnt(5)
	v_mul_f32_e32 v51, v47, v41
	v_mul_f32_e32 v62, v46, v41
	s_waitcnt lgkmcnt(4)
	v_mul_f32_e32 v53, v78, v43
	v_mul_f32_e32 v60, v77, v43
	s_waitcnt vmcnt(2) lgkmcnt(2)
	v_mul_f32_e32 v72, v86, v31
	s_waitcnt vmcnt(0) lgkmcnt(1)
	v_mul_f32_e32 v95, v92, v33
	v_mul_f32_e32 v52, v91, v33
	s_waitcnt lgkmcnt(0)
	v_mul_f32_e32 v96, v59, v35
	v_mul_f32_e32 v71, v58, v35
	v_fma_f32 v97, v46, v40, -v51
	v_fmac_f32_e32 v62, v47, v40
	v_mul_f32_e32 v54, v80, v37
	v_mul_f32_e32 v56, v79, v37
	;; [unrolled: 1-line block ×11, first 2 shown]
	v_fma_f32 v61, v77, v42, -v53
	v_fmac_f32_e32 v60, v78, v42
	v_fma_f32 v51, v85, v30, -v72
	v_fma_f32 v53, v91, v32, -v95
	;; [unrolled: 1-line block ×3, first 2 shown]
	v_fmac_f32_e32 v71, v59, v34
	v_fmac_f32_e32 v52, v92, v32
	v_add_f32_e32 v77, v44, v97
	v_add_f32_e32 v78, v45, v62
	v_fma_f32 v57, v79, v36, -v54
	v_fmac_f32_e32 v56, v80, v36
	v_fma_f32 v55, v81, v38, -v55
	v_fmac_f32_e32 v50, v82, v38
	;; [unrolled: 2-line block ×3, first 2 shown]
	v_fmac_f32_e32 v48, v86, v30
	v_fma_f32 v47, v87, v24, -v93
	v_fmac_f32_e32 v1, v88, v24
	v_fma_f32 v46, v89, v26, -v94
	v_fmac_f32_e32 v0, v90, v26
	v_add_f32_e32 v59, v62, v71
	v_sub_f32_e32 v79, v97, v72
	v_sub_f32_e32 v80, v62, v71
	v_add_f32_e32 v63, v61, v53
	v_add_f32_e32 v62, v60, v52
	v_sub_f32_e32 v81, v61, v53
	v_sub_f32_e32 v82, v60, v52
	v_add_f32_e32 v61, v77, v61
	v_add_f32_e32 v60, v78, v60
	;; [unrolled: 1-line block ×3, first 2 shown]
	v_sub_f32_e32 v83, v56, v0
	v_add_f32_e32 v84, v57, v46
	v_sub_f32_e32 v85, v57, v46
	v_add_f32_e32 v86, v56, v0
	v_sub_f32_e32 v87, v50, v1
	v_sub_f32_e32 v89, v55, v47
	;; [unrolled: 1-line block ×4, first 2 shown]
	v_mul_f32_e32 v77, 0xbf0a6770, v80
	v_mul_f32_e32 v78, 0xbf0a6770, v79
	;; [unrolled: 1-line block ×9, first 2 shown]
	v_add_f32_e32 v57, v61, v57
	v_add_f32_e32 v56, v60, v56
	v_add_f32_e32 v88, v55, v47
	v_add_f32_e32 v90, v50, v1
	v_add_f32_e32 v92, v54, v51
	v_add_f32_e32 v94, v49, v48
	v_mul_f32_e32 v79, 0xbe903f40, v79
	v_mul_f32_e32 v101, 0xbf68dda4, v82
	;; [unrolled: 1-line block ×41, first 2 shown]
	v_fma_f32 v133, 0x3f575c64, v58, -v77
	v_fmamk_f32 v134, v59, 0x3f575c64, v78
	v_fmac_f32_e32 v77, 0x3f575c64, v58
	v_fma_f32 v78, 0x3f575c64, v59, -v78
	v_fma_f32 v135, 0x3ed4b147, v58, -v95
	v_fmamk_f32 v136, v59, 0x3ed4b147, v96
	v_fmac_f32_e32 v95, 0x3ed4b147, v58
	v_fma_f32 v96, 0x3ed4b147, v59, -v96
	;; [unrolled: 4-line block ×4, first 2 shown]
	v_fmac_f32_e32 v80, 0xbf75a155, v58
	v_add_f32_e32 v55, v57, v55
	v_add_f32_e32 v50, v56, v50
	v_fma_f32 v100, 0xbf27a4f4, v59, -v100
	v_fmamk_f32 v142, v59, 0xbf75a155, v79
	v_fma_f32 v58, 0xbf75a155, v59, -v79
	v_fma_f32 v59, 0x3ed4b147, v63, -v101
	v_fmamk_f32 v79, v62, 0x3ed4b147, v102
	v_fmac_f32_e32 v101, 0x3ed4b147, v63
	v_fma_f32 v102, 0x3ed4b147, v62, -v102
	v_fma_f32 v143, 0xbf27a4f4, v63, -v103
	v_fmamk_f32 v144, v62, 0xbf27a4f4, v104
	v_fmac_f32_e32 v103, 0xbf27a4f4, v63
	v_fma_f32 v104, 0xbf27a4f4, v62, -v104
	v_fma_f32 v145, 0xbf75a155, v63, -v105
	v_fmac_f32_e32 v105, 0xbf75a155, v63
	v_fma_f32 v146, 0xbe11bafb, v63, -v107
	v_fmac_f32_e32 v107, 0xbe11bafb, v63
	;; [unrolled: 2-line block ×3, first 2 shown]
	v_fmamk_f32 v63, v62, 0xbf75a155, v106
	v_fma_f32 v106, 0xbf75a155, v62, -v106
	v_fmamk_f32 v148, v62, 0xbe11bafb, v108
	v_fma_f32 v108, 0xbe11bafb, v62, -v108
	v_fmamk_f32 v149, v62, 0x3f575c64, v81
	v_fma_f32 v62, 0x3f575c64, v62, -v81
	v_fma_f32 v81, 0xbe11bafb, v84, -v109
	v_fmac_f32_e32 v109, 0xbe11bafb, v84
	v_fma_f32 v150, 0xbf75a155, v84, -v110
	v_fmac_f32_e32 v110, 0xbf75a155, v84
	v_fma_f32 v151, 0x3ed4b147, v84, -v111
	v_fmac_f32_e32 v111, 0x3ed4b147, v84
	v_fma_f32 v152, 0x3f575c64, v84, -v112
	v_fmac_f32_e32 v112, 0x3f575c64, v84
	v_fma_f32 v153, 0xbf27a4f4, v84, -v83
	v_fmac_f32_e32 v83, 0xbf27a4f4, v84
	v_fmamk_f32 v60, v86, 0xbe11bafb, v113
	v_fma_f32 v61, 0xbe11bafb, v86, -v113
	v_fmamk_f32 v84, v86, 0xbf75a155, v114
	v_fma_f32 v113, 0xbf75a155, v86, -v114
	v_fmamk_f32 v114, v86, 0x3ed4b147, v115
	v_fma_f32 v115, 0x3ed4b147, v86, -v115
	v_fmamk_f32 v154, v86, 0x3f575c64, v116
	v_fma_f32 v116, 0x3f575c64, v86, -v116
	v_fmamk_f32 v155, v86, 0xbf27a4f4, v85
	v_fma_f32 v85, 0xbf27a4f4, v86, -v85
	v_fma_f32 v86, 0xbf27a4f4, v88, -v117
	v_fmac_f32_e32 v117, 0xbf27a4f4, v88
	v_fma_f32 v156, 0xbe11bafb, v88, -v118
	v_fmac_f32_e32 v118, 0xbe11bafb, v88
	v_fma_f32 v157, 0x3f575c64, v88, -v119
	v_fmac_f32_e32 v119, 0x3f575c64, v88
	v_fma_f32 v158, 0xbf75a155, v88, -v120
	v_fmac_f32_e32 v120, 0xbf75a155, v88
	v_fma_f32 v159, 0x3ed4b147, v88, -v87
	v_fmac_f32_e32 v87, 0x3ed4b147, v88
	v_fmamk_f32 v88, v90, 0xbf27a4f4, v121
	v_fma_f32 v121, 0xbf27a4f4, v90, -v121
	v_fmamk_f32 v160, v90, 0xbe11bafb, v122
	v_fma_f32 v122, 0xbe11bafb, v90, -v122
	;; [unrolled: 20-line block ×3, first 2 shown]
	v_fmamk_f32 v169, v94, 0xbf27a4f4, v131
	v_fma_f32 v131, 0xbf27a4f4, v94, -v131
	v_fmamk_f32 v170, v94, 0x3ed4b147, v132
	v_fma_f32 v132, 0x3ed4b147, v94, -v132
	;; [unrolled: 2-line block ×3, first 2 shown]
	v_add_f32_e32 v94, v44, v133
	v_add_f32_e32 v133, v45, v134
	;; [unrolled: 1-line block ×112, first 2 shown]
	ds_write2_b64 v69, v[60:61], v[62:63] offset0:30 offset1:173
	ds_write2_b64 v68, v[56:57], v[58:59] offset0:60 offset1:203
	;; [unrolled: 1-line block ×4, first 2 shown]
	ds_write_b64 v73, v[0:1] offset:11440
	ds_write2_b64 v73, v[44:45], v[46:47] offset1:143
	s_waitcnt lgkmcnt(0)
	s_barrier
	buffer_gl0_inv
	s_and_saveexec_b32 s1, vcc_lo
	s_cbranch_execz .LBB0_9
; %bb.8:
	v_add_co_u32 v83, s0, s14, v73
	v_add_co_ci_u32_e64 v84, null, s15, 0, s0
	v_add_nc_u32_e32 v116, 0x400, v73
	v_add_co_u32 v67, s0, 0x3000, v83
	v_add_co_ci_u32_e64 v68, s0, 0, v84, s0
	v_add_co_u32 v69, s0, 0x3128, v83
	v_add_co_ci_u32_e64 v70, s0, 0, v84, s0
	v_add_nc_u32_e32 v117, 0xc00, v73
	s_clause 0x1
	global_load_dwordx2 v[71:72], v[67:68], off offset:296
	global_load_dwordx2 v[77:78], v[69:70], off offset:968
	v_add_co_u32 v67, s0, 0x3800, v83
	v_add_co_ci_u32_e64 v68, s0, 0, v84, s0
	v_add_co_u32 v79, s0, 0x4000, v83
	v_add_co_ci_u32_e64 v80, s0, 0, v84, s0
	v_add_co_u32 v81, s0, 0x4800, v83
	v_add_co_ci_u32_e64 v82, s0, 0, v84, s0
	s_clause 0x2
	global_load_dwordx2 v[93:94], v[67:68], off offset:1152
	global_load_dwordx2 v[95:96], v[69:70], off offset:1936
	;; [unrolled: 1-line block ×3, first 2 shown]
	v_add_co_u32 v67, s0, 0x5000, v83
	v_add_co_ci_u32_e64 v68, s0, 0, v84, s0
	v_add_co_u32 v69, s0, 0x5800, v83
	v_add_co_ci_u32_e64 v70, s0, 0, v84, s0
	s_clause 0x7
	global_load_dwordx2 v[99:100], v[79:80], off offset:1040
	global_load_dwordx2 v[101:102], v[79:80], off offset:2008
	global_load_dwordx2 v[103:104], v[81:82], off offset:928
	global_load_dwordx2 v[105:106], v[81:82], off offset:1896
	global_load_dwordx2 v[107:108], v[67:68], off offset:816
	global_load_dwordx2 v[109:110], v[67:68], off offset:1784
	global_load_dwordx2 v[111:112], v[69:70], off offset:704
	global_load_dwordx2 v[113:114], v[69:70], off offset:1672
	ds_read2_b64 v[67:70], v73 offset1:121
	v_add_nc_u32_e32 v118, 0x1400, v73
	v_add_nc_u32_e32 v119, 0x1c00, v73
	;; [unrolled: 1-line block ×3, first 2 shown]
	s_waitcnt vmcnt(12) lgkmcnt(0)
	v_mul_f32_e32 v80, v68, v72
	v_mul_f32_e32 v79, v67, v72
	s_waitcnt vmcnt(11)
	v_mul_f32_e32 v81, v70, v78
	v_mul_f32_e32 v72, v69, v78
	v_fma_f32 v78, v67, v71, -v80
	v_fmac_f32_e32 v79, v68, v71
	v_fma_f32 v71, v69, v77, -v81
	v_fmac_f32_e32 v72, v70, v77
	ds_write2_b64 v73, v[78:79], v[71:72] offset1:121
	ds_read2_b64 v[67:70], v116 offset0:114 offset1:235
	ds_read2_b64 v[77:80], v117 offset0:100 offset1:221
	;; [unrolled: 1-line block ×5, first 2 shown]
	ds_read_b64 v[71:72], v73 offset:11616
	s_waitcnt vmcnt(9) lgkmcnt(5)
	v_mul_f32_e32 v121, v68, v96
	v_mul_f32_e32 v115, v67, v96
	;; [unrolled: 1-line block ×4, first 2 shown]
	s_waitcnt vmcnt(8) lgkmcnt(4)
	v_mul_f32_e32 v123, v78, v98
	v_mul_f32_e32 v94, v77, v98
	s_waitcnt vmcnt(7)
	v_mul_f32_e32 v124, v80, v100
	v_mul_f32_e32 v98, v79, v100
	s_waitcnt vmcnt(6) lgkmcnt(3)
	v_mul_f32_e32 v125, v82, v102
	v_mul_f32_e32 v100, v81, v102
	s_waitcnt vmcnt(5)
	v_mul_f32_e32 v126, v84, v104
	v_mul_f32_e32 v102, v83, v104
	;; [unrolled: 6-line block ×4, first 2 shown]
	s_waitcnt vmcnt(0) lgkmcnt(0)
	v_mul_f32_e32 v131, v72, v114
	v_mul_f32_e32 v112, v71, v114
	v_fma_f32 v114, v67, v95, -v121
	v_fmac_f32_e32 v115, v68, v95
	v_fma_f32 v95, v69, v93, -v122
	v_fmac_f32_e32 v96, v70, v93
	;; [unrolled: 2-line block ×11, first 2 shown]
	ds_write2_b64 v116, v[114:115], v[95:96] offset0:114 offset1:235
	ds_write2_b64 v117, v[93:94], v[97:98] offset0:100 offset1:221
	;; [unrolled: 1-line block ×5, first 2 shown]
	ds_write_b64 v73, v[111:112] offset:11616
.LBB0_9:
	s_or_b32 exec_lo, exec_lo, s1
	s_waitcnt lgkmcnt(0)
	s_barrier
	buffer_gl0_inv
	s_and_saveexec_b32 s0, vcc_lo
	s_cbranch_execz .LBB0_11
; %bb.10:
	v_add_nc_u32_e32 v0, 0x400, v73
	v_add_nc_u32_e32 v1, 0xc00, v73
	;; [unrolled: 1-line block ×5, first 2 shown]
	ds_read2_b64 v[44:47], v73 offset1:121
	ds_read2_b64 v[60:63], v0 offset0:114 offset1:235
	ds_read2_b64 v[56:59], v1 offset0:100 offset1:221
	;; [unrolled: 1-line block ×5, first 2 shown]
	ds_read_b64 v[65:66], v73 offset:11616
.LBB0_11:
	s_or_b32 exec_lo, exec_lo, s0
	s_waitcnt lgkmcnt(0)
	s_barrier
	buffer_gl0_inv
	s_and_saveexec_b32 s0, vcc_lo
	s_cbranch_execz .LBB0_13
; %bb.12:
	v_add_f32_e32 v91, v66, v47
	v_sub_f32_e32 v81, v46, v65
	v_add_f32_e32 v93, v3, v61
	v_sub_f32_e32 v78, v60, v2
	v_add_f32_e32 v94, v1, v63
	v_mul_f32_e32 v95, 0xbf788fa5, v91
	v_sub_f32_e32 v79, v62, v0
	v_mul_f32_e32 v97, 0x3f62ad3f, v93
	v_add_f32_e32 v96, v51, v57
	v_mul_f32_e32 v99, 0xbf3f9e67, v94
	v_fmamk_f32 v67, v81, 0x3e750f2a, v95
	v_sub_f32_e32 v100, v47, v66
	v_fmamk_f32 v68, v78, 0xbeedf032, v97
	v_sub_f32_e32 v77, v56, v50
	v_add_f32_e32 v98, v49, v59
	v_add_f32_e32 v67, v45, v67
	;; [unrolled: 1-line block ×3, first 2 shown]
	v_mul_f32_e32 v101, 0x3f116cb1, v96
	v_fmamk_f32 v69, v79, 0x3f29c268, v99
	v_sub_f32_e32 v102, v61, v3
	v_add_f32_e32 v67, v68, v67
	v_mul_f32_e32 v104, 0xbe750f2a, v100
	v_sub_f32_e32 v80, v58, v48
	v_mul_f32_e32 v103, 0xbeb58ec6, v98
	v_fmamk_f32 v68, v77, 0xbf52af12, v101
	v_add_f32_e32 v67, v69, v67
	v_add_f32_e32 v84, v2, v60
	v_mul_f32_e32 v105, 0x3eedf032, v102
	v_fmamk_f32 v70, v82, 0xbf788fa5, v104
	v_sub_f32_e32 v107, v63, v1
	v_fmamk_f32 v69, v80, 0x3f6f5d39, v103
	v_add_f32_e32 v67, v68, v67
	v_add_f32_e32 v106, v55, v53
	v_fmamk_f32 v68, v84, 0x3f62ad3f, v105
	v_add_f32_e32 v70, v44, v70
	v_add_f32_e32 v85, v0, v62
	v_mul_f32_e32 v108, 0xbf29c268, v107
	v_sub_f32_e32 v110, v57, v51
	v_add_f32_e32 v67, v69, v67
	v_mul_f32_e32 v109, 0x3df6dbef, v106
	v_sub_f32_e32 v83, v52, v54
	v_add_f32_e32 v68, v68, v70
	v_fmamk_f32 v69, v85, 0xbf3f9e67, v108
	v_add_f32_e32 v86, v50, v56
	v_mul_f32_e32 v111, 0x3f52af12, v110
	v_fmamk_f32 v70, v83, 0xbf7e222b, v109
	v_sub_f32_e32 v112, v59, v49
	v_add_f32_e32 v69, v69, v68
	v_mul_f32_e32 v113, 0xbf3f9e67, v91
	v_fmamk_f32 v71, v86, 0x3f116cb1, v111
	v_add_f32_e32 v68, v70, v67
	v_add_f32_e32 v88, v48, v58
	v_mul_f32_e32 v114, 0xbf6f5d39, v112
	v_sub_f32_e32 v115, v53, v55
	v_add_f32_e32 v67, v71, v69
	v_fmamk_f32 v69, v81, 0x3f29c268, v113
	v_mul_f32_e32 v116, 0x3df6dbef, v93
	v_fmamk_f32 v70, v88, 0xbeb58ec6, v114
	v_add_f32_e32 v87, v54, v52
	v_mul_f32_e32 v117, 0x3f7e222b, v115
	v_add_f32_e32 v69, v45, v69
	v_fmamk_f32 v71, v78, 0xbf7e222b, v116
	v_mul_f32_e32 v118, 0x3f116cb1, v94
	v_add_f32_e32 v67, v70, v67
	v_fmamk_f32 v70, v87, 0x3df6dbef, v117
	;; [unrolled: 3-line block ×27, first 2 shown]
	v_mul_f32_e32 v144, 0x3f62ad3f, v96
	v_add_f32_e32 v47, v47, v45
	v_add_f32_e32 v71, v90, v71
	v_fmamk_f32 v90, v82, 0x3df6dbef, v143
	v_mul_f32_e32 v145, 0xbe750f2a, v102
	v_add_f32_e32 v89, v92, v89
	v_fmamk_f32 v92, v77, 0xbeedf032, v144
	v_mul_f32_e32 v146, 0x3f116cb1, v98
	v_add_f32_e32 v47, v61, v47
	v_add_f32_e32 v46, v46, v44
	;; [unrolled: 1-line block ×3, first 2 shown]
	v_fmamk_f32 v147, v84, 0xbf788fa5, v145
	v_mul_f32_e32 v148, 0x3f6f5d39, v107
	v_add_f32_e32 v89, v92, v89
	v_fmamk_f32 v92, v80, 0x3f52af12, v146
	v_mul_f32_e32 v149, 0xbf3f9e67, v106
	v_add_f32_e32 v47, v63, v47
	v_add_f32_e32 v46, v60, v46
	;; [unrolled: 1-line block ×3, first 2 shown]
	v_fmamk_f32 v147, v85, 0xbeb58ec6, v148
	v_mul_f32_e32 v150, 0x3eedf032, v110
	v_add_f32_e32 v89, v92, v89
	v_fmamk_f32 v92, v83, 0x3f29c268, v149
	v_mul_f32_e32 v151, 0x3f116cb1, v91
	v_mul_f32_e32 v60, 0xbeedf032, v100
	v_add_f32_e32 v47, v57, v47
	v_add_f32_e32 v46, v62, v46
	;; [unrolled: 1-line block ×3, first 2 shown]
	v_fmamk_f32 v152, v86, 0x3f62ad3f, v150
	v_mul_f32_e32 v153, 0xbf52af12, v112
	v_add_f32_e32 v90, v92, v89
	v_fmamk_f32 v89, v81, 0x3f52af12, v151
	v_mul_f32_e32 v154, 0xbeb58ec6, v93
	v_fmamk_f32 v57, v82, 0x3f62ad3f, v60
	v_mul_f32_e32 v62, 0xbf52af12, v102
	v_add_f32_e32 v47, v59, v47
	v_add_f32_e32 v46, v56, v46
	;; [unrolled: 1-line block ×3, first 2 shown]
	v_fmamk_f32 v147, v88, 0x3f116cb1, v153
	v_mul_f32_e32 v152, 0xbf29c268, v115
	v_add_f32_e32 v89, v45, v89
	v_fmamk_f32 v155, v78, 0x3f6f5d39, v154
	v_mul_f32_e32 v156, 0xbf788fa5, v94
	v_add_f32_e32 v56, v44, v57
	;; [unrolled: 3-line block ×3, first 2 shown]
	v_add_f32_e32 v46, v58, v46
	v_add_f32_e32 v92, v147, v92
	v_fmamk_f32 v147, v87, 0xbf3f9e67, v152
	v_mul_f32_e32 v157, 0xbf52af12, v100
	v_add_f32_e32 v155, v155, v89
	v_fmamk_f32 v158, v79, 0x3e750f2a, v156
	v_mul_f32_e32 v159, 0xbf3f9e67, v96
	v_add_f32_e32 v53, v57, v56
	v_fmamk_f32 v56, v85, 0x3df6dbef, v59
	v_add_f32_e32 v47, v55, v47
	v_add_f32_e32 v46, v52, v46
	v_mul_f32_e32 v55, 0xbf6f5d39, v110
	v_add_f32_e32 v89, v147, v92
	v_fmamk_f32 v92, v82, 0x3f116cb1, v157
	v_mul_f32_e32 v147, 0xbf6f5d39, v102
	v_add_f32_e32 v155, v158, v155
	v_fmamk_f32 v158, v77, 0xbf29c268, v159
	v_mul_f32_e32 v160, 0x3df6dbef, v98
	v_add_f32_e32 v53, v56, v53
	v_add_f32_e32 v49, v49, v47
	;; [unrolled: 1-line block ×3, first 2 shown]
	v_fmamk_f32 v54, v86, 0xbeb58ec6, v55
	v_mul_f32_e32 v56, 0xbf29c268, v112
	v_add_f32_e32 v92, v44, v92
	v_fmamk_f32 v161, v84, 0xbeb58ec6, v147
	v_mul_f32_e32 v162, 0xbe750f2a, v107
	v_add_f32_e32 v155, v158, v155
	;; [unrolled: 3-line block ×3, first 2 shown]
	v_add_f32_e32 v46, v48, v46
	v_add_f32_e32 v48, v54, v53
	v_fmamk_f32 v51, v88, 0xbf3f9e67, v56
	v_mul_f32_e32 v54, 0xbe750f2a, v115
	v_add_f32_e32 v92, v161, v92
	v_fmamk_f32 v161, v85, 0xbf788fa5, v162
	v_add_f32_e32 v155, v158, v155
	v_fmamk_f32 v158, v83, 0xbeedf032, v163
	v_mul_f32_e32 v165, 0x3f62ad3f, v91
	v_add_f32_e32 v1, v1, v49
	v_add_f32_e32 v46, v50, v46
	v_fmac_f32_e32 v95, 0xbe750f2a, v81
	v_add_f32_e32 v48, v51, v48
	v_fmamk_f32 v49, v87, 0xbf788fa5, v54
	v_add_f32_e32 v91, v161, v92
	v_add_f32_e32 v92, v158, v155
	v_fmamk_f32 v155, v81, 0x3eedf032, v165
	v_mul_f32_e32 v93, 0x3f116cb1, v93
	v_add_f32_e32 v1, v3, v1
	v_add_f32_e32 v0, v0, v46
	;; [unrolled: 1-line block ×3, first 2 shown]
	v_fmac_f32_e32 v97, 0x3eedf032, v78
	v_add_f32_e32 v46, v49, v48
	v_fma_f32 v48, 0xbf788fa5, v82, -v104
	v_add_f32_e32 v155, v45, v155
	v_fmamk_f32 v167, v78, 0x3f52af12, v93
	v_mul_f32_e32 v94, 0x3df6dbef, v94
	v_add_f32_e32 v0, v2, v0
	v_add_f32_e32 v2, v97, v3
	v_fmac_f32_e32 v99, 0xbf29c268, v79
	v_add_f32_e32 v3, v44, v48
	v_fma_f32 v48, 0x3f62ad3f, v84, -v105
	v_fmac_f32_e32 v113, 0xbf29c268, v81
	v_add_f32_e32 v155, v167, v155
	v_fmamk_f32 v167, v79, 0x3f7e222b, v94
	v_mul_f32_e32 v96, 0xbeb58ec6, v96
	v_add_f32_e32 v2, v99, v2
	v_fmac_f32_e32 v101, 0x3f52af12, v77
	v_add_f32_e32 v3, v48, v3
	v_fma_f32 v48, 0xbf3f9e67, v85, -v108
	v_add_f32_e32 v49, v45, v113
	v_fmac_f32_e32 v116, 0x3f7e222b, v78
	v_add_f32_e32 v61, v167, v155
	v_fmamk_f32 v155, v77, 0x3f6f5d39, v96
	v_mul_f32_e32 v98, 0xbf3f9e67, v98
	v_add_f32_e32 v2, v101, v2
	v_fmac_f32_e32 v103, 0xbf6f5d39, v80
	v_add_f32_e32 v3, v48, v3
	v_fma_f32 v48, 0x3f116cb1, v86, -v111
	v_add_f32_e32 v49, v116, v49
	;; [unrolled: 9-line block ×3, first 2 shown]
	v_fmac_f32_e32 v120, 0x3e750f2a, v77
	v_add_f32_e32 v61, v63, v61
	v_fmamk_f32 v52, v83, 0x3e750f2a, v58
	v_add_f32_e32 v3, v109, v2
	v_fma_f32 v2, 0xbf3f9e67, v82, -v119
	v_add_f32_e32 v48, v50, v48
	v_fma_f32 v50, 0x3df6dbef, v87, -v117
	v_add_f32_e32 v49, v120, v49
	v_fmac_f32_e32 v122, 0x3eedf032, v80
	v_add_f32_e32 v47, v52, v61
	v_add_f32_e32 v51, v44, v2
	v_fma_f32 v52, 0x3df6dbef, v84, -v121
	v_add_f32_e32 v2, v50, v48
	v_fmac_f32_e32 v126, 0xbf6f5d39, v81
	v_add_f32_e32 v48, v122, v49
	v_fmac_f32_e32 v124, 0xbf6f5d39, v83
	v_add_f32_e32 v50, v52, v51
	v_fma_f32 v51, 0x3f116cb1, v85, -v123
	v_add_f32_e32 v52, v45, v126
	v_fmac_f32_e32 v128, 0x3f29c268, v78
	v_add_f32_e32 v49, v124, v48
	v_fma_f32 v48, 0xbeb58ec6, v82, -v131
	v_add_f32_e32 v50, v51, v50
	v_fma_f32 v51, 0xbf788fa5, v86, -v125
	v_add_f32_e32 v52, v128, v52
	v_fmac_f32_e32 v130, 0x3eedf032, v79
	v_add_f32_e32 v48, v44, v48
	v_fma_f32 v53, 0xbf3f9e67, v84, -v133
	;; [unrolled: 6-line block ×4, first 2 shown]
	v_fmac_f32_e32 v138, 0xbf7e222b, v81
	v_add_f32_e32 v48, v51, v50
	v_add_f32_e32 v50, v134, v52
	v_fmac_f32_e32 v136, 0x3f52af12, v83
	v_add_f32_e32 v52, v57, v53
	v_fma_f32 v53, 0xbf788fa5, v88, -v139
	v_add_f32_e32 v57, v45, v138
	v_fmac_f32_e32 v140, 0xbe750f2a, v78
	v_add_f32_e32 v51, v136, v50
	v_fma_f32 v50, 0x3df6dbef, v82, -v143
	v_add_f32_e32 v52, v53, v52
	v_fma_f32 v53, 0x3f116cb1, v87, -v141
	v_add_f32_e32 v57, v140, v57
	v_fmac_f32_e32 v142, 0x3f6f5d39, v79
	v_add_f32_e32 v61, v44, v50
	v_fma_f32 v63, 0xbf788fa5, v84, -v145
	v_add_f32_e32 v50, v53, v52
	v_fmac_f32_e32 v151, 0xbf52af12, v81
	v_add_f32_e32 v52, v142, v57
	v_fmac_f32_e32 v144, 0x3eedf032, v77
	v_add_f32_e32 v53, v63, v61
	v_fma_f32 v57, 0xbeb58ec6, v85, -v148
	v_add_f32_e32 v61, v45, v151
	v_fmac_f32_e32 v154, 0xbf6f5d39, v78
	v_add_f32_e32 v52, v144, v52
	v_fmac_f32_e32 v146, 0xbf52af12, v80
	v_add_f32_e32 v53, v57, v53
	v_fma_f32 v57, 0x3f62ad3f, v86, -v150
	v_add_f32_e32 v61, v154, v61
	v_fmac_f32_e32 v156, 0xbe750f2a, v79
	v_add_f32_e32 v52, v146, v52
	v_fmac_f32_e32 v149, 0xbf29c268, v83
	v_add_f32_e32 v57, v57, v53
	v_fma_f32 v63, 0x3f116cb1, v88, -v153
	v_add_f32_e32 v61, v156, v61
	v_fmac_f32_e32 v159, 0x3f29c268, v77
	v_add_f32_e32 v53, v149, v52
	v_fma_f32 v52, 0x3f116cb1, v82, -v157
	v_add_f32_e32 v1, v66, v1
	v_add_f32_e32 v0, v65, v0
	;; [unrolled: 1-line block ×3, first 2 shown]
	v_fma_f32 v63, 0xbf3f9e67, v87, -v152
	v_add_f32_e32 v61, v159, v61
	v_fmac_f32_e32 v160, 0x3f7e222b, v80
	v_add_f32_e32 v65, v44, v52
	v_fma_f32 v66, 0xbeb58ec6, v84, -v147
	v_fmac_f32_e32 v165, 0xbeedf032, v81
	v_fma_f32 v60, 0x3f62ad3f, v82, -v60
	v_mul_f32_e32 v164, 0x3f29c268, v110
	v_add_f32_e32 v52, v63, v57
	v_add_f32_e32 v57, v160, v61
	v_add_f32_e32 v61, v66, v65
	v_fma_f32 v63, 0xbf788fa5, v85, -v162
	v_add_f32_e32 v45, v45, v165
	v_fmac_f32_e32 v93, 0xbf52af12, v78
	v_add_f32_e32 v44, v44, v60
	v_fma_f32 v60, 0x3f116cb1, v84, -v62
	v_mul_f32_e32 v166, 0x3f7e222b, v112
	v_add_f32_e32 v61, v63, v61
	v_fma_f32 v62, 0xbf3f9e67, v86, -v164
	v_add_f32_e32 v45, v93, v45
	v_fmac_f32_e32 v94, 0xbf7e222b, v79
	v_add_f32_e32 v44, v60, v44
	v_fma_f32 v59, 0x3df6dbef, v85, -v59
	v_fmamk_f32 v161, v86, 0xbf3f9e67, v164
	v_add_f32_e32 v60, v62, v61
	v_fma_f32 v61, 0x3df6dbef, v88, -v166
	v_add_f32_e32 v45, v94, v45
	v_fmac_f32_e32 v96, 0xbf6f5d39, v77
	v_add_f32_e32 v44, v59, v44
	v_fma_f32 v55, 0xbeb58ec6, v86, -v55
	v_add_f32_e32 v91, v161, v91
	v_fmamk_f32 v158, v88, 0x3df6dbef, v166
	v_mul_f32_e32 v161, 0x3eedf032, v115
	v_add_f32_e32 v59, v61, v60
	v_add_f32_e32 v45, v96, v45
	v_fmac_f32_e32 v98, 0xbf29c268, v80
	v_add_f32_e32 v44, v55, v44
	v_fma_f32 v55, 0xbf3f9e67, v88, -v56
	v_mov_b32_e32 v60, 3
	v_add_f32_e32 v91, v158, v91
	v_fmamk_f32 v158, v87, 0x3f62ad3f, v161
	v_fmac_f32_e32 v163, 0x3eedf032, v83
	v_fma_f32 v56, 0x3f62ad3f, v87, -v161
	v_add_f32_e32 v61, v98, v45
	v_fmac_f32_e32 v58, 0xbe750f2a, v83
	v_add_f32_e32 v62, v55, v44
	v_fma_f32 v54, 0xbf788fa5, v87, -v54
	v_lshlrev_b32_sdwa v60, v60, v75 dst_sel:DWORD dst_unused:UNUSED_PAD src0_sel:DWORD src1_sel:WORD_0
	v_add_f32_e32 v91, v158, v91
	v_add_f32_e32 v45, v163, v57
	;; [unrolled: 1-line block ×5, first 2 shown]
	ds_write2_b64 v60, v[0:1], v[46:47] offset1:1
	ds_write2_b64 v60, v[91:92], v[89:90] offset0:2 offset1:3
	ds_write2_b64 v60, v[71:72], v[69:70] offset0:4 offset1:5
	;; [unrolled: 1-line block ×5, first 2 shown]
	ds_write_b64 v60, v[54:55] offset:96
.LBB0_13:
	s_or_b32 exec_lo, exec_lo, s0
	s_waitcnt lgkmcnt(0)
	s_barrier
	buffer_gl0_inv
	ds_read2_b64 v[44:47], v73 offset1:143
	v_add_nc_u32_e32 v0, 0x800, v73
	v_add_nc_u32_e32 v1, 0x1000, v73
	ds_read2_b64 v[48:51], v0 offset0:30 offset1:173
	ds_read2_b64 v[52:55], v1 offset0:60 offset1:203
	v_add_nc_u32_e32 v2, 0x1800, v73
	v_add_nc_u32_e32 v3, 0x2200, v73
	ds_read2_b64 v[56:59], v2 offset0:90 offset1:233
	ds_read_b64 v[65:66], v73 offset:11440
	ds_read2_b64 v[60:63], v3 offset0:56 offset1:199
	s_waitcnt lgkmcnt(0)
	s_barrier
	buffer_gl0_inv
	v_mul_f32_e32 v67, v21, v47
	v_mul_f32_e32 v21, v21, v46
	v_fmac_f32_e32 v67, v20, v46
	v_fma_f32 v20, v20, v47, -v21
	v_mul_f32_e32 v21, v23, v49
	v_mul_f32_e32 v23, v23, v48
	;; [unrolled: 1-line block ×8, first 2 shown]
	v_fmac_f32_e32 v21, v22, v48
	v_fma_f32 v22, v22, v49, -v23
	v_fmac_f32_e32 v46, v16, v50
	v_fma_f32 v16, v16, v51, -v17
	v_fma_f32 v17, v18, v53, -v19
	v_add_f32_e32 v19, v44, v67
	v_add_f32_e32 v23, v45, v20
	v_fmac_f32_e32 v47, v18, v52
	v_mul_f32_e32 v18, v11, v57
	v_fmac_f32_e32 v68, v8, v54
	v_fma_f32 v8, v8, v55, -v9
	v_mul_f32_e32 v9, v11, v56
	v_add_f32_e32 v11, v19, v21
	v_add_f32_e32 v19, v23, v22
	v_fmac_f32_e32 v18, v10, v56
	v_mul_f32_e32 v23, v5, v59
	v_mul_f32_e32 v5, v5, v58
	v_fma_f32 v9, v10, v57, -v9
	v_add_f32_e32 v10, v11, v46
	v_add_f32_e32 v11, v19, v16
	v_fmac_f32_e32 v23, v4, v58
	v_fma_f32 v19, v4, v59, -v5
	v_mul_f32_e32 v48, v7, v61
	v_add_f32_e32 v4, v10, v47
	v_add_f32_e32 v5, v11, v17
	v_mul_f32_e32 v7, v7, v60
	v_mul_f32_e32 v10, v13, v63
	v_fmac_f32_e32 v48, v6, v60
	v_add_f32_e32 v4, v4, v68
	v_add_f32_e32 v5, v5, v8
	v_fma_f32 v6, v6, v61, -v7
	v_mul_f32_e32 v7, v15, v65
	v_mul_f32_e32 v13, v13, v62
	v_fmac_f32_e32 v10, v12, v62
	v_add_f32_e32 v5, v5, v9
	v_add_f32_e32 v4, v4, v18
	v_mul_f32_e32 v11, v15, v66
	v_fma_f32 v7, v14, v66, -v7
	v_fma_f32 v12, v12, v63, -v13
	v_add_f32_e32 v5, v5, v19
	v_add_f32_e32 v4, v4, v23
	v_fmac_f32_e32 v11, v14, v65
	v_sub_f32_e32 v13, v20, v7
	v_add_f32_e32 v15, v20, v7
	v_add_f32_e32 v5, v5, v6
	;; [unrolled: 1-line block ×4, first 2 shown]
	v_mul_f32_e32 v20, 0xbf0a6770, v13
	v_sub_f32_e32 v49, v67, v11
	v_add_f32_e32 v5, v5, v12
	v_mul_f32_e32 v50, 0x3f575c64, v15
	v_mul_f32_e32 v53, 0x3ed4b147, v15
	;; [unrolled: 1-line block ×4, first 2 shown]
	v_add_f32_e32 v5, v5, v7
	v_mul_f32_e32 v7, 0xbf68dda4, v13
	v_mul_f32_e32 v59, 0xbf4178ce, v13
	;; [unrolled: 1-line block ×5, first 2 shown]
	v_sub_f32_e32 v65, v22, v12
	v_add_f32_e32 v4, v4, v10
	v_fmamk_f32 v51, v14, 0x3f575c64, v20
	v_fma_f32 v20, 0x3f575c64, v14, -v20
	v_fmamk_f32 v52, v14, 0x3ed4b147, v7
	v_fma_f32 v7, 0x3ed4b147, v14, -v7
	;; [unrolled: 2-line block ×4, first 2 shown]
	v_fmamk_f32 v63, v14, 0xbf75a155, v13
	v_fmamk_f32 v66, v49, 0x3e903f40, v15
	v_fma_f32 v13, 0xbf75a155, v14, -v13
	v_add_f32_e32 v12, v22, v12
	v_add_f32_e32 v14, v21, v10
	v_mul_f32_e32 v22, 0xbf68dda4, v65
	v_add_f32_e32 v4, v4, v11
	v_fmamk_f32 v11, v49, 0x3f0a6770, v50
	v_add_f32_e32 v51, v44, v51
	v_fmac_f32_e32 v50, 0xbf0a6770, v49
	v_fmamk_f32 v55, v49, 0x3f68dda4, v53
	v_fmac_f32_e32 v53, 0xbf68dda4, v49
	v_fmamk_f32 v58, v49, 0x3f7d64f0, v56
	;; [unrolled: 2-line block ×3, first 2 shown]
	v_fmac_f32_e32 v60, 0xbf4178ce, v49
	v_fmac_f32_e32 v15, 0xbe903f40, v49
	v_sub_f32_e32 v10, v21, v10
	v_mul_f32_e32 v21, 0x3ed4b147, v12
	v_add_f32_e32 v49, v45, v66
	v_fmamk_f32 v66, v14, 0x3ed4b147, v22
	v_add_f32_e32 v11, v45, v11
	v_add_f32_e32 v20, v44, v20
	;; [unrolled: 1-line block ×18, first 2 shown]
	v_fmamk_f32 v44, v10, 0x3f68dda4, v21
	v_mul_f32_e32 v45, 0xbf4178ce, v65
	v_add_f32_e32 v51, v66, v51
	v_fma_f32 v22, 0x3ed4b147, v14, -v22
	v_fmac_f32_e32 v21, 0xbf68dda4, v10
	v_mul_f32_e32 v66, 0xbf27a4f4, v12
	v_add_f32_e32 v11, v44, v11
	v_fmamk_f32 v44, v14, 0xbf27a4f4, v45
	v_add_f32_e32 v20, v22, v20
	v_add_f32_e32 v21, v21, v50
	v_mul_f32_e32 v22, 0x3e903f40, v65
	v_fmamk_f32 v50, v10, 0x3f4178ce, v66
	v_fma_f32 v45, 0xbf27a4f4, v14, -v45
	v_fmac_f32_e32 v66, 0xbf4178ce, v10
	v_mul_f32_e32 v67, 0xbf75a155, v12
	v_add_f32_e32 v44, v44, v52
	v_fmamk_f32 v52, v14, 0xbf75a155, v22
	v_add_f32_e32 v50, v50, v55
	v_add_f32_e32 v7, v45, v7
	;; [unrolled: 1-line block ×3, first 2 shown]
	v_fmamk_f32 v53, v10, 0xbe903f40, v67
	v_mul_f32_e32 v55, 0x3f7d64f0, v65
	v_add_f32_e32 v52, v52, v57
	v_fma_f32 v22, 0xbf75a155, v14, -v22
	v_mul_f32_e32 v57, 0xbe11bafb, v12
	v_add_f32_e32 v53, v53, v58
	v_fmamk_f32 v58, v14, 0xbe11bafb, v55
	v_mul_f32_e32 v65, 0x3f0a6770, v65
	v_fma_f32 v55, 0xbe11bafb, v14, -v55
	v_add_f32_e32 v22, v22, v54
	v_fmamk_f32 v54, v10, 0xbf7d64f0, v57
	v_add_f32_e32 v58, v58, v61
	v_fmac_f32_e32 v57, 0x3f7d64f0, v10
	v_fmamk_f32 v61, v14, 0x3f575c64, v65
	v_add_f32_e32 v55, v55, v59
	v_sub_f32_e32 v59, v16, v6
	v_add_f32_e32 v54, v54, v62
	v_mul_f32_e32 v12, 0x3f575c64, v12
	v_add_f32_e32 v57, v57, v60
	v_add_f32_e32 v60, v61, v63
	;; [unrolled: 1-line block ×3, first 2 shown]
	v_mul_f32_e32 v63, 0xbf7d64f0, v59
	v_add_f32_e32 v6, v16, v6
	v_fmac_f32_e32 v67, 0x3e903f40, v10
	v_fmamk_f32 v61, v10, 0xbf0a6770, v12
	v_fma_f32 v14, 0x3f575c64, v14, -v65
	v_fmac_f32_e32 v12, 0x3f0a6770, v10
	v_sub_f32_e32 v10, v46, v48
	v_fmamk_f32 v16, v62, 0xbe11bafb, v63
	v_mul_f32_e32 v46, 0xbe11bafb, v6
	v_add_f32_e32 v48, v61, v49
	v_add_f32_e32 v13, v14, v13
	;; [unrolled: 1-line block ×4, first 2 shown]
	v_fmamk_f32 v15, v10, 0x3f7d64f0, v46
	v_mul_f32_e32 v16, 0x3e903f40, v59
	v_fma_f32 v49, 0xbe11bafb, v62, -v63
	v_fmac_f32_e32 v46, 0xbf7d64f0, v10
	v_mul_f32_e32 v51, 0xbf75a155, v6
	v_add_f32_e32 v11, v15, v11
	v_fmamk_f32 v15, v62, 0xbf75a155, v16
	v_add_f32_e32 v20, v49, v20
	v_add_f32_e32 v21, v46, v21
	v_fmamk_f32 v46, v10, 0xbe903f40, v51
	v_mul_f32_e32 v49, 0x3f68dda4, v59
	v_fma_f32 v16, 0xbf75a155, v62, -v16
	v_fmac_f32_e32 v51, 0x3e903f40, v10
	v_add_f32_e32 v15, v15, v44
	v_add_f32_e32 v44, v46, v50
	v_fmamk_f32 v46, v62, 0x3ed4b147, v49
	v_mul_f32_e32 v50, 0x3ed4b147, v6
	v_add_f32_e32 v7, v16, v7
	v_add_f32_e32 v16, v51, v45
	v_mul_f32_e32 v45, 0xbf0a6770, v59
	v_add_f32_e32 v56, v67, v56
	v_add_f32_e32 v46, v46, v52
	v_fmamk_f32 v51, v10, 0xbf68dda4, v50
	v_fma_f32 v49, 0x3ed4b147, v62, -v49
	v_fmac_f32_e32 v50, 0x3f68dda4, v10
	v_fmamk_f32 v52, v62, 0x3f575c64, v45
	v_mul_f32_e32 v61, 0x3f575c64, v6
	v_mul_f32_e32 v6, 0xbf27a4f4, v6
	v_add_f32_e32 v22, v49, v22
	v_add_f32_e32 v49, v50, v56
	v_add_f32_e32 v50, v52, v58
	v_fmamk_f32 v52, v10, 0x3f0a6770, v61
	v_fma_f32 v45, 0x3f575c64, v62, -v45
	v_fmac_f32_e32 v61, 0xbf0a6770, v10
	v_add_f32_e32 v51, v51, v53
	v_mul_f32_e32 v53, 0xbf4178ce, v59
	v_fmamk_f32 v56, v10, 0x3f4178ce, v6
	v_add_f32_e32 v45, v45, v55
	v_add_f32_e32 v55, v61, v57
	v_sub_f32_e32 v57, v17, v19
	v_add_f32_e32 v17, v17, v19
	v_add_f32_e32 v52, v52, v54
	v_fmamk_f32 v54, v62, 0xbf27a4f4, v53
	v_add_f32_e32 v48, v56, v48
	v_add_f32_e32 v56, v47, v23
	v_mul_f32_e32 v19, 0xbf4178ce, v57
	v_fma_f32 v53, 0xbf27a4f4, v62, -v53
	v_fmac_f32_e32 v6, 0xbf4178ce, v10
	v_sub_f32_e32 v10, v47, v23
	v_mul_f32_e32 v23, 0xbf27a4f4, v17
	v_fmamk_f32 v47, v56, 0xbf27a4f4, v19
	v_add_f32_e32 v13, v53, v13
	v_add_f32_e32 v6, v6, v12
	v_mul_f32_e32 v12, 0x3f7d64f0, v57
	v_fmamk_f32 v53, v10, 0x3f4178ce, v23
	v_fma_f32 v19, 0xbf27a4f4, v56, -v19
	v_fmac_f32_e32 v23, 0xbf4178ce, v10
	v_add_f32_e32 v14, v47, v14
	v_fmamk_f32 v47, v56, 0xbe11bafb, v12
	v_add_f32_e32 v11, v53, v11
	v_mul_f32_e32 v53, 0xbe11bafb, v17
	v_add_f32_e32 v19, v19, v20
	v_add_f32_e32 v20, v23, v21
	v_mul_f32_e32 v21, 0xbf0a6770, v57
	v_add_f32_e32 v15, v47, v15
	v_fmamk_f32 v23, v10, 0xbf7d64f0, v53
	v_fma_f32 v12, 0xbe11bafb, v56, -v12
	v_mul_f32_e32 v47, 0x3f575c64, v17
	v_fmamk_f32 v58, v56, 0x3f575c64, v21
	v_fmac_f32_e32 v53, 0x3f7d64f0, v10
	v_add_f32_e32 v23, v23, v44
	v_add_f32_e32 v12, v12, v7
	v_fmamk_f32 v7, v10, 0x3f0a6770, v47
	v_add_f32_e32 v44, v58, v46
	v_mul_f32_e32 v46, 0xbe903f40, v57
	v_fma_f32 v21, 0x3f575c64, v56, -v21
	v_fmac_f32_e32 v47, 0xbf0a6770, v10
	v_add_f32_e32 v16, v53, v16
	v_add_f32_e32 v51, v7, v51
	v_mul_f32_e32 v7, 0xbf75a155, v17
	v_fmamk_f32 v53, v56, 0xbf75a155, v46
	v_add_f32_e32 v21, v21, v22
	v_add_f32_e32 v22, v47, v49
	v_mul_f32_e32 v47, 0x3f68dda4, v57
	v_add_f32_e32 v54, v54, v60
	v_fmamk_f32 v49, v10, 0x3e903f40, v7
	v_add_f32_e32 v50, v53, v50
	v_fma_f32 v46, 0xbf75a155, v56, -v46
	v_fmamk_f32 v53, v56, 0x3ed4b147, v47
	v_fmac_f32_e32 v7, 0xbe903f40, v10
	v_add_f32_e32 v49, v49, v52
	v_mul_f32_e32 v17, 0x3ed4b147, v17
	v_add_f32_e32 v45, v46, v45
	v_add_f32_e32 v52, v53, v54
	v_sub_f32_e32 v53, v8, v9
	v_add_f32_e32 v54, v8, v9
	v_add_f32_e32 v46, v7, v55
	v_fmamk_f32 v7, v10, 0xbf68dda4, v17
	v_fma_f32 v47, 0x3ed4b147, v56, -v47
	v_add_f32_e32 v55, v68, v18
	v_mul_f32_e32 v8, 0xbe903f40, v53
	v_sub_f32_e32 v56, v68, v18
	v_mul_f32_e32 v9, 0xbf75a155, v54
	v_fmac_f32_e32 v17, 0x3f68dda4, v10
	v_add_f32_e32 v48, v7, v48
	v_fmamk_f32 v7, v55, 0xbf75a155, v8
	v_add_f32_e32 v47, v47, v13
	v_fmamk_f32 v10, v56, 0x3e903f40, v9
	v_mul_f32_e32 v13, 0x3f0a6770, v53
	v_add_f32_e32 v57, v17, v6
	v_add_f32_e32 v6, v7, v14
	v_fma_f32 v8, 0xbf75a155, v55, -v8
	v_add_f32_e32 v7, v10, v11
	v_fmamk_f32 v10, v55, 0x3f575c64, v13
	v_mul_f32_e32 v14, 0x3f575c64, v54
	v_mul_f32_e32 v17, 0xbf4178ce, v53
	v_fmac_f32_e32 v9, 0xbe903f40, v56
	v_add_f32_e32 v8, v8, v19
	v_add_f32_e32 v10, v10, v15
	v_fmamk_f32 v11, v56, 0xbf0a6770, v14
	v_fma_f32 v13, 0x3f575c64, v55, -v13
	v_fmac_f32_e32 v14, 0x3f0a6770, v56
	v_fmamk_f32 v15, v55, 0xbf27a4f4, v17
	v_mul_f32_e32 v18, 0xbf27a4f4, v54
	v_mul_f32_e32 v19, 0x3f68dda4, v53
	v_add_f32_e32 v9, v9, v20
	v_add_f32_e32 v12, v13, v12
	;; [unrolled: 1-line block ×4, first 2 shown]
	v_fmamk_f32 v15, v56, 0x3f4178ce, v18
	v_fmac_f32_e32 v18, 0xbf4178ce, v56
	v_fmamk_f32 v20, v55, 0x3ed4b147, v19
	v_add_f32_e32 v11, v11, v23
	v_fma_f32 v16, 0xbf27a4f4, v55, -v17
	v_mul_f32_e32 v23, 0x3ed4b147, v54
	v_add_f32_e32 v17, v18, v22
	v_fma_f32 v22, 0x3ed4b147, v55, -v19
	v_add_f32_e32 v18, v20, v50
	v_mul_f32_e32 v44, 0xbf7d64f0, v53
	v_mul_f32_e32 v50, 0xbe11bafb, v54
	v_add_f32_e32 v16, v16, v21
	v_fmamk_f32 v21, v56, 0xbf68dda4, v23
	v_add_f32_e32 v20, v22, v45
	v_fmac_f32_e32 v23, 0x3f68dda4, v56
	v_fmamk_f32 v22, v55, 0xbe11bafb, v44
	v_fmamk_f32 v45, v56, 0x3f7d64f0, v50
	v_fma_f32 v44, 0xbe11bafb, v55, -v44
	v_fmac_f32_e32 v50, 0xbf7d64f0, v56
	v_add_f32_e32 v15, v15, v51
	v_add_f32_e32 v19, v21, v49
	v_add_f32_e32 v21, v23, v46
	v_add_f32_e32 v22, v22, v52
	v_add_f32_e32 v23, v45, v48
	v_add_f32_e32 v44, v44, v47
	v_add_f32_e32 v45, v50, v57
	ds_write2_b64 v76, v[4:5], v[6:7] offset1:13
	ds_write2_b64 v76, v[10:11], v[14:15] offset0:26 offset1:39
	ds_write2_b64 v76, v[18:19], v[22:23] offset0:52 offset1:65
	ds_write2_b64 v76, v[44:45], v[20:21] offset0:78 offset1:91
	ds_write2_b64 v76, v[16:17], v[12:13] offset0:104 offset1:117
	ds_write_b64 v76, v[8:9] offset:1040
	s_waitcnt lgkmcnt(0)
	s_barrier
	buffer_gl0_inv
	ds_read2_b64 v[4:7], v73 offset1:143
	ds_read2_b64 v[8:11], v0 offset0:30 offset1:173
	ds_read2_b64 v[12:15], v1 offset0:60 offset1:203
	;; [unrolled: 1-line block ×4, first 2 shown]
	ds_read_b64 v[44:45], v73 offset:11440
	s_waitcnt lgkmcnt(5)
	v_mul_f32_e32 v46, v41, v7
	s_waitcnt lgkmcnt(4)
	v_mul_f32_e32 v47, v43, v9
	v_mul_f32_e32 v41, v41, v6
	;; [unrolled: 1-line block ×3, first 2 shown]
	v_fmac_f32_e32 v46, v40, v6
	v_fmac_f32_e32 v47, v42, v8
	v_mul_f32_e32 v8, v37, v11
	v_fma_f32 v6, v40, v7, -v41
	v_mul_f32_e32 v7, v37, v10
	s_waitcnt lgkmcnt(3)
	v_mul_f32_e32 v37, v39, v13
	v_mul_f32_e32 v39, v39, v12
	v_fmac_f32_e32 v8, v36, v10
	v_mul_f32_e32 v10, v29, v15
	v_fma_f32 v9, v42, v9, -v43
	v_fma_f32 v11, v36, v11, -v7
	v_fmac_f32_e32 v37, v38, v12
	v_fma_f32 v12, v38, v13, -v39
	v_mul_f32_e32 v7, v29, v14
	v_fmac_f32_e32 v10, v28, v14
	s_waitcnt lgkmcnt(2)
	v_mul_f32_e32 v13, v31, v17
	v_add_f32_e32 v14, v4, v46
	v_add_f32_e32 v29, v5, v6
	v_fma_f32 v15, v28, v15, -v7
	v_mul_f32_e32 v7, v31, v16
	v_fmac_f32_e32 v13, v30, v16
	v_add_f32_e32 v14, v14, v47
	v_add_f32_e32 v16, v29, v9
	v_mul_f32_e32 v28, v25, v19
	v_fma_f32 v17, v30, v17, -v7
	v_mul_f32_e32 v7, v25, v18
	v_add_f32_e32 v14, v14, v8
	v_add_f32_e32 v16, v16, v11
	v_fmac_f32_e32 v28, v24, v18
	s_waitcnt lgkmcnt(1)
	v_mul_f32_e32 v18, v27, v21
	v_fma_f32 v19, v24, v19, -v7
	v_add_f32_e32 v7, v14, v37
	v_add_f32_e32 v14, v16, v12
	v_mul_f32_e32 v16, v27, v20
	v_fmac_f32_e32 v18, v26, v20
	v_mul_f32_e32 v20, v33, v23
	v_add_f32_e32 v7, v7, v10
	v_add_f32_e32 v14, v14, v15
	v_fma_f32 v16, v26, v21, -v16
	s_waitcnt lgkmcnt(0)
	v_mul_f32_e32 v21, v35, v44
	v_mul_f32_e32 v24, v35, v45
	v_add_f32_e32 v7, v7, v13
	v_add_f32_e32 v14, v14, v17
	v_fmac_f32_e32 v20, v32, v22
	v_fma_f32 v21, v34, v45, -v21
	v_mul_f32_e32 v22, v33, v22
	v_add_f32_e32 v7, v7, v28
	v_add_f32_e32 v14, v14, v19
	v_fmac_f32_e32 v24, v34, v44
	v_sub_f32_e32 v25, v6, v21
	v_fma_f32 v22, v32, v23, -v22
	v_add_f32_e32 v7, v7, v18
	v_add_f32_e32 v14, v14, v16
	;; [unrolled: 1-line block ×3, first 2 shown]
	v_mul_f32_e32 v26, 0xbf0a6770, v25
	v_add_f32_e32 v27, v6, v21
	v_add_f32_e32 v6, v7, v20
	v_add_f32_e32 v7, v14, v22
	v_sub_f32_e32 v14, v46, v24
	v_fmamk_f32 v29, v23, 0x3f575c64, v26
	v_mul_f32_e32 v30, 0x3f575c64, v27
	v_mul_f32_e32 v31, 0x3ed4b147, v27
	v_add_f32_e32 v7, v7, v21
	v_mul_f32_e32 v34, 0xbf7d64f0, v25
	v_add_f32_e32 v21, v4, v29
	v_mul_f32_e32 v29, 0xbf68dda4, v25
	v_mul_f32_e32 v36, 0xbe11bafb, v27
	;; [unrolled: 1-line block ×6, first 2 shown]
	v_sub_f32_e32 v45, v9, v22
	v_add_f32_e32 v9, v9, v22
	v_add_f32_e32 v6, v6, v24
	v_fmamk_f32 v24, v14, 0x3f0a6770, v30
	v_fma_f32 v26, 0x3f575c64, v23, -v26
	v_fmac_f32_e32 v30, 0xbf0a6770, v14
	v_fmamk_f32 v32, v23, 0x3ed4b147, v29
	v_fmamk_f32 v33, v14, 0x3f68dda4, v31
	v_fma_f32 v29, 0x3ed4b147, v23, -v29
	v_fmac_f32_e32 v31, 0xbf68dda4, v14
	v_fmamk_f32 v35, v23, 0xbe11bafb, v34
	;; [unrolled: 4-line block ×4, first 2 shown]
	v_fmamk_f32 v44, v14, 0x3e903f40, v27
	v_add_f32_e32 v46, v47, v20
	v_mul_f32_e32 v22, 0xbf68dda4, v45
	v_fma_f32 v23, 0xbf75a155, v23, -v25
	v_fmac_f32_e32 v27, 0xbe903f40, v14
	v_sub_f32_e32 v14, v47, v20
	v_mul_f32_e32 v20, 0x3ed4b147, v9
	v_add_f32_e32 v24, v5, v24
	v_add_f32_e32 v26, v4, v26
	;; [unrolled: 1-line block ×17, first 2 shown]
	v_fmamk_f32 v25, v46, 0x3ed4b147, v22
	v_add_f32_e32 v4, v4, v23
	v_add_f32_e32 v5, v5, v27
	v_mul_f32_e32 v23, 0xbf4178ce, v45
	v_fmamk_f32 v27, v14, 0x3f68dda4, v20
	v_add_f32_e32 v21, v25, v21
	v_fma_f32 v22, 0x3ed4b147, v46, -v22
	v_fmac_f32_e32 v20, 0xbf68dda4, v14
	v_fmamk_f32 v25, v46, 0xbf27a4f4, v23
	v_add_f32_e32 v24, v27, v24
	v_mul_f32_e32 v27, 0xbf27a4f4, v9
	v_add_f32_e32 v22, v22, v26
	v_add_f32_e32 v20, v20, v30
	;; [unrolled: 1-line block ×3, first 2 shown]
	v_mul_f32_e32 v26, 0x3e903f40, v45
	v_fmamk_f32 v30, v14, 0x3f4178ce, v27
	v_fma_f32 v23, 0xbf27a4f4, v46, -v23
	v_mul_f32_e32 v32, 0xbf75a155, v9
	v_fmac_f32_e32 v27, 0xbf4178ce, v14
	v_fmamk_f32 v47, v46, 0xbf75a155, v26
	v_add_f32_e32 v30, v30, v33
	v_add_f32_e32 v23, v23, v29
	v_fmamk_f32 v29, v14, 0xbe903f40, v32
	v_mul_f32_e32 v33, 0x3f7d64f0, v45
	v_fma_f32 v26, 0xbf75a155, v46, -v26
	v_add_f32_e32 v27, v27, v31
	v_add_f32_e32 v31, v47, v35
	v_add_f32_e32 v29, v29, v39
	v_fmamk_f32 v39, v46, 0xbe11bafb, v33
	v_add_f32_e32 v26, v26, v34
	v_mul_f32_e32 v34, 0x3f0a6770, v45
	v_fmac_f32_e32 v32, 0x3e903f40, v14
	v_mul_f32_e32 v35, 0xbe11bafb, v9
	v_add_f32_e32 v39, v39, v40
	v_fma_f32 v33, 0xbe11bafb, v46, -v33
	v_fmamk_f32 v40, v46, 0x3f575c64, v34
	v_add_f32_e32 v32, v32, v36
	v_fmamk_f32 v36, v14, 0xbf7d64f0, v35
	v_fmac_f32_e32 v35, 0x3f7d64f0, v14
	v_mul_f32_e32 v9, 0x3f575c64, v9
	v_add_f32_e32 v33, v33, v38
	v_add_f32_e32 v38, v40, v43
	v_sub_f32_e32 v40, v11, v16
	v_add_f32_e32 v11, v11, v16
	v_add_f32_e32 v36, v36, v42
	;; [unrolled: 1-line block ×3, first 2 shown]
	v_fmamk_f32 v41, v14, 0xbf0a6770, v9
	v_fma_f32 v34, 0x3f575c64, v46, -v34
	v_add_f32_e32 v16, v8, v18
	v_mul_f32_e32 v42, 0xbf7d64f0, v40
	v_fmac_f32_e32 v9, 0x3f0a6770, v14
	v_sub_f32_e32 v8, v8, v18
	v_mul_f32_e32 v14, 0xbe11bafb, v11
	v_add_f32_e32 v18, v41, v44
	v_fmamk_f32 v41, v16, 0xbe11bafb, v42
	v_add_f32_e32 v4, v34, v4
	v_add_f32_e32 v5, v9, v5
	v_fmamk_f32 v9, v8, 0x3f7d64f0, v14
	v_mul_f32_e32 v34, 0x3e903f40, v40
	v_fmac_f32_e32 v14, 0xbf7d64f0, v8
	v_add_f32_e32 v21, v41, v21
	v_fma_f32 v41, 0xbe11bafb, v16, -v42
	v_add_f32_e32 v9, v9, v24
	v_fmamk_f32 v24, v16, 0xbf75a155, v34
	v_mul_f32_e32 v42, 0xbf75a155, v11
	v_add_f32_e32 v14, v14, v20
	v_mul_f32_e32 v20, 0x3f68dda4, v40
	v_add_f32_e32 v22, v41, v22
	v_add_f32_e32 v24, v24, v25
	v_fmamk_f32 v25, v8, 0xbe903f40, v42
	v_fma_f32 v34, 0xbf75a155, v16, -v34
	v_fmamk_f32 v41, v16, 0x3ed4b147, v20
	v_mul_f32_e32 v43, 0x3ed4b147, v11
	v_fma_f32 v20, 0x3ed4b147, v16, -v20
	v_add_f32_e32 v25, v25, v30
	v_add_f32_e32 v23, v34, v23
	;; [unrolled: 1-line block ×3, first 2 shown]
	v_fmamk_f32 v31, v8, 0xbf68dda4, v43
	v_mul_f32_e32 v34, 0xbf0a6770, v40
	v_fmac_f32_e32 v43, 0x3f68dda4, v8
	v_mul_f32_e32 v41, 0x3f575c64, v11
	v_add_f32_e32 v20, v20, v26
	v_add_f32_e32 v29, v31, v29
	v_fmamk_f32 v31, v16, 0x3f575c64, v34
	v_add_f32_e32 v26, v43, v32
	v_fmamk_f32 v32, v8, 0x3f0a6770, v41
	v_mul_f32_e32 v40, 0xbf4178ce, v40
	v_fma_f32 v34, 0x3f575c64, v16, -v34
	v_fmac_f32_e32 v41, 0xbf0a6770, v8
	v_mul_f32_e32 v11, 0xbf27a4f4, v11
	v_add_f32_e32 v32, v32, v36
	v_fmamk_f32 v36, v16, 0xbf27a4f4, v40
	v_add_f32_e32 v33, v34, v33
	v_add_f32_e32 v34, v41, v35
	v_sub_f32_e32 v35, v12, v19
	v_add_f32_e32 v12, v12, v19
	v_fmac_f32_e32 v42, 0x3e903f40, v8
	v_add_f32_e32 v31, v31, v39
	v_add_f32_e32 v36, v36, v38
	v_fmamk_f32 v38, v8, 0x3f4178ce, v11
	v_add_f32_e32 v39, v37, v28
	v_mul_f32_e32 v19, 0xbf4178ce, v35
	v_fmac_f32_e32 v11, 0xbf4178ce, v8
	v_sub_f32_e32 v8, v37, v28
	v_mul_f32_e32 v28, 0xbf27a4f4, v12
	v_fma_f32 v16, 0xbf27a4f4, v16, -v40
	v_fmamk_f32 v37, v39, 0xbf27a4f4, v19
	v_add_f32_e32 v5, v11, v5
	v_fma_f32 v19, 0xbf27a4f4, v39, -v19
	v_fmamk_f32 v11, v8, 0x3f4178ce, v28
	v_add_f32_e32 v4, v16, v4
	v_add_f32_e32 v16, v37, v21
	v_mul_f32_e32 v21, 0x3f7d64f0, v35
	v_fmac_f32_e32 v28, 0xbf4178ce, v8
	v_add_f32_e32 v9, v11, v9
	v_mul_f32_e32 v11, 0xbe11bafb, v12
	v_add_f32_e32 v19, v19, v22
	v_fmamk_f32 v37, v39, 0xbe11bafb, v21
	v_add_f32_e32 v14, v28, v14
	v_mul_f32_e32 v22, 0xbf0a6770, v35
	v_fmamk_f32 v28, v8, 0xbf7d64f0, v11
	v_add_f32_e32 v27, v42, v27
	v_add_f32_e32 v24, v37, v24
	v_fma_f32 v21, 0xbe11bafb, v39, -v21
	v_fmac_f32_e32 v11, 0x3f7d64f0, v8
	v_fmamk_f32 v37, v39, 0x3f575c64, v22
	v_add_f32_e32 v25, v28, v25
	v_mul_f32_e32 v28, 0x3f575c64, v12
	v_add_f32_e32 v21, v21, v23
	v_add_f32_e32 v23, v11, v27
	;; [unrolled: 1-line block ×3, first 2 shown]
	v_mul_f32_e32 v11, 0xbe903f40, v35
	v_fmamk_f32 v30, v8, 0x3f0a6770, v28
	v_add_f32_e32 v18, v38, v18
	v_fma_f32 v22, 0x3f575c64, v39, -v22
	v_fmac_f32_e32 v28, 0xbf0a6770, v8
	v_mul_f32_e32 v37, 0xbf75a155, v12
	v_fmamk_f32 v38, v39, 0xbf75a155, v11
	v_add_f32_e32 v29, v30, v29
	v_mul_f32_e32 v30, 0x3f68dda4, v35
	v_add_f32_e32 v20, v22, v20
	v_add_f32_e32 v26, v28, v26
	v_fmamk_f32 v22, v8, 0x3e903f40, v37
	v_add_f32_e32 v28, v38, v31
	v_mul_f32_e32 v12, 0x3ed4b147, v12
	v_fma_f32 v11, 0xbf75a155, v39, -v11
	v_fmamk_f32 v31, v39, 0x3ed4b147, v30
	v_sub_f32_e32 v35, v15, v17
	v_add_f32_e32 v22, v22, v32
	v_fmamk_f32 v32, v8, 0xbf68dda4, v12
	v_add_f32_e32 v33, v11, v33
	v_add_f32_e32 v31, v31, v36
	;; [unrolled: 1-line block ×3, first 2 shown]
	v_mul_f32_e32 v11, 0xbe903f40, v35
	v_add_f32_e32 v17, v15, v17
	v_fmac_f32_e32 v12, 0x3f68dda4, v8
	v_fmac_f32_e32 v37, 0xbe903f40, v8
	v_fma_f32 v15, 0x3ed4b147, v39, -v30
	v_sub_f32_e32 v30, v10, v13
	v_fmamk_f32 v8, v36, 0xbf75a155, v11
	v_mul_f32_e32 v10, 0xbf75a155, v17
	v_add_f32_e32 v38, v12, v5
	v_mul_f32_e32 v12, 0x3f0a6770, v35
	v_add_f32_e32 v34, v37, v34
	v_add_f32_e32 v37, v15, v4
	;; [unrolled: 1-line block ×3, first 2 shown]
	v_fmamk_f32 v5, v30, 0x3e903f40, v10
	v_fma_f32 v8, 0xbf75a155, v36, -v11
	v_fmac_f32_e32 v10, 0xbe903f40, v30
	v_fmamk_f32 v11, v36, 0x3f575c64, v12
	v_mul_f32_e32 v13, 0x3f575c64, v17
	v_add_f32_e32 v32, v32, v18
	v_add_f32_e32 v5, v5, v9
	v_add_f32_e32 v9, v10, v14
	v_add_f32_e32 v10, v11, v24
	v_fmamk_f32 v11, v30, 0xbf0a6770, v13
	v_fma_f32 v12, 0x3f575c64, v36, -v12
	v_mul_f32_e32 v14, 0xbf4178ce, v35
	v_fmac_f32_e32 v13, 0x3f0a6770, v30
	v_mul_f32_e32 v39, 0xbf27a4f4, v17
	v_mul_f32_e32 v18, 0x3f68dda4, v35
	v_add_f32_e32 v8, v8, v19
	v_add_f32_e32 v12, v12, v21
	v_fmamk_f32 v15, v36, 0xbf27a4f4, v14
	v_add_f32_e32 v13, v13, v23
	v_fmamk_f32 v16, v30, 0x3f4178ce, v39
	v_fma_f32 v19, 0xbf27a4f4, v36, -v14
	v_mul_f32_e32 v21, 0x3ed4b147, v17
	v_fmamk_f32 v23, v36, 0x3ed4b147, v18
	v_add_f32_e32 v14, v15, v27
	v_add_f32_e32 v15, v16, v29
	;; [unrolled: 1-line block ×3, first 2 shown]
	v_fmamk_f32 v19, v30, 0xbf68dda4, v21
	v_fma_f32 v20, 0x3ed4b147, v36, -v18
	v_add_f32_e32 v18, v23, v28
	v_mul_f32_e32 v23, 0xbf7d64f0, v35
	v_mul_f32_e32 v17, 0xbe11bafb, v17
	v_add_f32_e32 v19, v19, v22
	v_add_f32_e32 v11, v11, v25
	v_fmac_f32_e32 v21, 0x3f68dda4, v30
	v_fmamk_f32 v22, v36, 0xbe11bafb, v23
	v_fmamk_f32 v24, v30, 0x3f7d64f0, v17
	v_fma_f32 v25, 0xbe11bafb, v36, -v23
	v_fmac_f32_e32 v17, 0xbf7d64f0, v30
	v_fmac_f32_e32 v39, 0xbf4178ce, v30
	v_add_f32_e32 v22, v22, v31
	v_add_f32_e32 v23, v24, v32
	;; [unrolled: 1-line block ×7, first 2 shown]
	ds_write2_b64 v73, v[6:7], v[4:5] offset1:143
	ds_write2_b64 v0, v[10:11], v[14:15] offset0:30 offset1:173
	ds_write2_b64 v1, v[18:19], v[22:23] offset0:60 offset1:203
	;; [unrolled: 1-line block ×4, first 2 shown]
	ds_write_b64 v73, v[8:9] offset:11440
	s_waitcnt lgkmcnt(0)
	s_barrier
	buffer_gl0_inv
	s_and_b32 exec_lo, exec_lo, vcc_lo
	s_cbranch_execz .LBB0_15
; %bb.14:
	v_add_co_u32 v9, s0, s14, v73
	v_add_co_ci_u32_e64 v10, null, s15, 0, s0
	s_clause 0x2
	global_load_dwordx2 v[27:28], v73, s[14:15]
	global_load_dwordx2 v[29:30], v73, s[14:15] offset:968
	global_load_dwordx2 v[31:32], v73, s[14:15] offset:1936
	v_add_co_u32 v3, vcc_lo, 0x800, v9
	v_add_co_ci_u32_e32 v4, vcc_lo, 0, v10, vcc_lo
	v_add_co_u32 v5, vcc_lo, 0x1000, v9
	v_add_co_ci_u32_e32 v6, vcc_lo, 0, v10, vcc_lo
	;; [unrolled: 2-line block ×3, first 2 shown]
	s_clause 0x5
	global_load_dwordx2 v[33:34], v[3:4], off offset:856
	global_load_dwordx2 v[35:36], v[3:4], off offset:1824
	;; [unrolled: 1-line block ×6, first 2 shown]
	v_add_co_u32 v3, vcc_lo, 0x2000, v9
	v_add_co_ci_u32_e32 v4, vcc_lo, 0, v10, vcc_lo
	v_add_co_u32 v45, vcc_lo, 0x2800, v9
	v_add_co_ci_u32_e32 v46, vcc_lo, 0, v10, vcc_lo
	s_clause 0x2
	global_load_dwordx2 v[47:48], v[3:4], off offset:520
	global_load_dwordx2 v[49:50], v[3:4], off offset:1488
	;; [unrolled: 1-line block ×3, first 2 shown]
	v_mad_u64_u32 v[3:4], null, s6, v64, 0
	v_mad_u64_u32 v[5:6], null, s4, v74, 0
	ds_read_b64 v[53:54], v73
	ds_read2_b64 v[15:18], v2 offset0:79 offset1:200
	v_add_nc_u32_e32 v2, 0x2000, v73
	ds_read2_b64 v[11:14], v1 offset0:93 offset1:214
	v_add_nc_u32_e32 v23, 0x2800, v73
	s_mul_i32 s2, s5, 0x3c8
	v_mad_u64_u32 v[7:8], null, s7, v64, v[4:5]
	ds_read2_b64 v[19:22], v2 offset0:65 offset1:186
	ds_read2_b64 v[23:26], v23 offset0:51 offset1:172
	s_mul_hi_u32 s3, s4, 0x3c8
	s_mulk_i32 s4, 0x3c8
	s_add_i32 s3, s3, s2
	s_mov_b32 s0, 0x49b95e3b
	v_mad_u64_u32 v[8:9], null, s5, v74, v[6:7]
	v_mov_b32_e32 v4, v7
	s_mov_b32 s1, 0x3f44d4df
	v_lshlrev_b64 v[3:4], 3, v[3:4]
	v_mov_b32_e32 v6, v8
	ds_read2_b64 v[7:10], v0 offset0:107 offset1:228
	v_lshlrev_b64 v[5:6], 3, v[5:6]
	v_add_co_u32 v3, vcc_lo, s12, v3
	v_add_co_ci_u32_e32 v4, vcc_lo, s13, v4, vcc_lo
	v_add_co_u32 v55, vcc_lo, v3, v5
	v_add_co_ci_u32_e32 v56, vcc_lo, v4, v6, vcc_lo
	ds_read2_b64 v[3:6], v73 offset0:121 offset1:242
	v_add_co_u32 v57, vcc_lo, v55, s4
	v_add_co_ci_u32_e32 v58, vcc_lo, s3, v56, vcc_lo
	v_add_co_u32 v59, vcc_lo, v57, s4
	v_add_co_ci_u32_e32 v60, vcc_lo, s3, v58, vcc_lo
	;; [unrolled: 2-line block ×9, first 2 shown]
	s_waitcnt vmcnt(10) lgkmcnt(0)
	v_mul_f32_e32 v73, v4, v30
	s_waitcnt vmcnt(9)
	v_mul_f32_e32 v74, v6, v32
	v_mul_f32_e32 v32, v5, v32
	;; [unrolled: 1-line block ×5, first 2 shown]
	v_fmac_f32_e32 v73, v3, v29
	v_fma_f32 v6, v31, v6, -v32
	v_fmac_f32_e32 v2, v53, v27
	v_fma_f32 v27, v27, v54, -v28
	;; [unrolled: 2-line block ×3, first 2 shown]
	v_cvt_f64_f32_e32 v[53:54], v6
	s_waitcnt vmcnt(8)
	v_mul_f32_e32 v6, v8, v34
	v_mul_f32_e32 v34, v7, v34
	v_cvt_f64_f32_e32 v[4:5], v27
	v_cvt_f64_f32_e32 v[27:28], v73
	s_waitcnt vmcnt(7)
	v_mul_f32_e32 v73, v10, v36
	v_mul_f32_e32 v36, v9, v36
	v_cvt_f64_f32_e32 v[31:32], v74
	s_waitcnt vmcnt(6)
	v_mul_f32_e32 v74, v12, v38
	v_mul_f32_e32 v38, v11, v38
	s_waitcnt vmcnt(5)
	v_mul_f32_e32 v75, v14, v40
	v_mul_f32_e32 v40, v13, v40
	;; [unrolled: 3-line block ×4, first 2 shown]
	v_fmac_f32_e32 v6, v7, v33
	v_fma_f32 v8, v33, v8, -v34
	s_waitcnt vmcnt(2)
	v_mul_f32_e32 v78, v20, v48
	v_mul_f32_e32 v48, v19, v48
	v_fmac_f32_e32 v73, v9, v35
	v_fma_f32 v33, v35, v10, -v36
	v_cvt_f64_f32_e32 v[2:3], v2
	s_waitcnt vmcnt(1)
	v_mul_f32_e32 v79, v22, v50
	v_mul_f32_e32 v50, v21, v50
	v_fmac_f32_e32 v74, v11, v37
	v_fma_f32 v34, v37, v12, -v38
	v_cvt_f64_f32_e32 v[29:30], v29
	s_waitcnt vmcnt(0)
	v_mul_f32_e32 v80, v24, v52
	v_mul_f32_e32 v52, v23, v52
	v_fmac_f32_e32 v75, v13, v39
	v_fma_f32 v35, v39, v14, -v40
	v_fmac_f32_e32 v76, v15, v41
	v_fma_f32 v36, v41, v16, -v42
	;; [unrolled: 2-line block ×3, first 2 shown]
	v_cvt_f64_f32_e32 v[6:7], v6
	v_cvt_f64_f32_e32 v[8:9], v8
	v_fmac_f32_e32 v78, v19, v47
	v_fma_f32 v41, v47, v20, -v48
	v_cvt_f64_f32_e32 v[10:11], v73
	v_cvt_f64_f32_e32 v[12:13], v33
	v_fmac_f32_e32 v79, v21, v49
	v_fma_f32 v47, v49, v22, -v50
	;; [unrolled: 4-line block ×3, first 2 shown]
	v_cvt_f64_f32_e32 v[18:19], v75
	v_cvt_f64_f32_e32 v[20:21], v35
	;; [unrolled: 1-line block ×12, first 2 shown]
	v_mul_f64 v[2:3], v[2:3], s[0:1]
	v_mul_f64 v[4:5], v[4:5], s[0:1]
	;; [unrolled: 1-line block ×24, first 2 shown]
	v_cvt_f32_f64_e32 v2, v[2:3]
	v_cvt_f32_f64_e32 v3, v[4:5]
	;; [unrolled: 1-line block ×24, first 2 shown]
	v_add_co_u32 v29, vcc_lo, v71, s4
	v_add_co_ci_u32_e32 v30, vcc_lo, s3, v72, vcc_lo
	v_add_co_u32 v31, vcc_lo, v29, s4
	v_add_co_ci_u32_e32 v32, vcc_lo, s3, v30, vcc_lo
	global_store_dwordx2 v[55:56], v[2:3], off
	global_store_dwordx2 v[57:58], v[4:5], off
	;; [unrolled: 1-line block ×12, first 2 shown]
	global_load_dwordx2 v[0:1], v[45:46], off offset:1376
	s_waitcnt vmcnt(0)
	v_mul_f32_e32 v2, v26, v1
	v_mul_f32_e32 v1, v25, v1
	v_fmac_f32_e32 v2, v25, v0
	v_fma_f32 v3, v0, v26, -v1
	v_cvt_f64_f32_e32 v[0:1], v2
	v_cvt_f64_f32_e32 v[2:3], v3
	v_mul_f64 v[0:1], v[0:1], s[0:1]
	v_mul_f64 v[2:3], v[2:3], s[0:1]
	v_cvt_f32_f64_e32 v0, v[0:1]
	v_cvt_f32_f64_e32 v1, v[2:3]
	v_add_co_u32 v2, vcc_lo, v31, s4
	v_add_co_ci_u32_e32 v3, vcc_lo, s3, v32, vcc_lo
	global_store_dwordx2 v[2:3], v[0:1], off
.LBB0_15:
	s_endpgm
	.section	.rodata,"a",@progbits
	.p2align	6, 0x0
	.amdhsa_kernel bluestein_single_fwd_len1573_dim1_sp_op_CI_CI
		.amdhsa_group_segment_fixed_size 12584
		.amdhsa_private_segment_fixed_size 0
		.amdhsa_kernarg_size 104
		.amdhsa_user_sgpr_count 6
		.amdhsa_user_sgpr_private_segment_buffer 1
		.amdhsa_user_sgpr_dispatch_ptr 0
		.amdhsa_user_sgpr_queue_ptr 0
		.amdhsa_user_sgpr_kernarg_segment_ptr 1
		.amdhsa_user_sgpr_dispatch_id 0
		.amdhsa_user_sgpr_flat_scratch_init 0
		.amdhsa_user_sgpr_private_segment_size 0
		.amdhsa_wavefront_size32 1
		.amdhsa_uses_dynamic_stack 0
		.amdhsa_system_sgpr_private_segment_wavefront_offset 0
		.amdhsa_system_sgpr_workgroup_id_x 1
		.amdhsa_system_sgpr_workgroup_id_y 0
		.amdhsa_system_sgpr_workgroup_id_z 0
		.amdhsa_system_sgpr_workgroup_info 0
		.amdhsa_system_vgpr_workitem_id 0
		.amdhsa_next_free_vgpr 172
		.amdhsa_next_free_sgpr 16
		.amdhsa_reserve_vcc 1
		.amdhsa_reserve_flat_scratch 0
		.amdhsa_float_round_mode_32 0
		.amdhsa_float_round_mode_16_64 0
		.amdhsa_float_denorm_mode_32 3
		.amdhsa_float_denorm_mode_16_64 3
		.amdhsa_dx10_clamp 1
		.amdhsa_ieee_mode 1
		.amdhsa_fp16_overflow 0
		.amdhsa_workgroup_processor_mode 1
		.amdhsa_memory_ordered 1
		.amdhsa_forward_progress 0
		.amdhsa_shared_vgpr_count 0
		.amdhsa_exception_fp_ieee_invalid_op 0
		.amdhsa_exception_fp_denorm_src 0
		.amdhsa_exception_fp_ieee_div_zero 0
		.amdhsa_exception_fp_ieee_overflow 0
		.amdhsa_exception_fp_ieee_underflow 0
		.amdhsa_exception_fp_ieee_inexact 0
		.amdhsa_exception_int_div_zero 0
	.end_amdhsa_kernel
	.text
.Lfunc_end0:
	.size	bluestein_single_fwd_len1573_dim1_sp_op_CI_CI, .Lfunc_end0-bluestein_single_fwd_len1573_dim1_sp_op_CI_CI
                                        ; -- End function
	.section	.AMDGPU.csdata,"",@progbits
; Kernel info:
; codeLenInByte = 18532
; NumSgprs: 18
; NumVgprs: 172
; ScratchSize: 0
; MemoryBound: 0
; FloatMode: 240
; IeeeMode: 1
; LDSByteSize: 12584 bytes/workgroup (compile time only)
; SGPRBlocks: 2
; VGPRBlocks: 21
; NumSGPRsForWavesPerEU: 18
; NumVGPRsForWavesPerEU: 172
; Occupancy: 5
; WaveLimiterHint : 1
; COMPUTE_PGM_RSRC2:SCRATCH_EN: 0
; COMPUTE_PGM_RSRC2:USER_SGPR: 6
; COMPUTE_PGM_RSRC2:TRAP_HANDLER: 0
; COMPUTE_PGM_RSRC2:TGID_X_EN: 1
; COMPUTE_PGM_RSRC2:TGID_Y_EN: 0
; COMPUTE_PGM_RSRC2:TGID_Z_EN: 0
; COMPUTE_PGM_RSRC2:TIDIG_COMP_CNT: 0
	.text
	.p2alignl 6, 3214868480
	.fill 48, 4, 3214868480
	.type	__hip_cuid_62bab47ce7a6dae3,@object ; @__hip_cuid_62bab47ce7a6dae3
	.section	.bss,"aw",@nobits
	.globl	__hip_cuid_62bab47ce7a6dae3
__hip_cuid_62bab47ce7a6dae3:
	.byte	0                               ; 0x0
	.size	__hip_cuid_62bab47ce7a6dae3, 1

	.ident	"AMD clang version 19.0.0git (https://github.com/RadeonOpenCompute/llvm-project roc-6.4.0 25133 c7fe45cf4b819c5991fe208aaa96edf142730f1d)"
	.section	".note.GNU-stack","",@progbits
	.addrsig
	.addrsig_sym __hip_cuid_62bab47ce7a6dae3
	.amdgpu_metadata
---
amdhsa.kernels:
  - .args:
      - .actual_access:  read_only
        .address_space:  global
        .offset:         0
        .size:           8
        .value_kind:     global_buffer
      - .actual_access:  read_only
        .address_space:  global
        .offset:         8
        .size:           8
        .value_kind:     global_buffer
      - .actual_access:  read_only
        .address_space:  global
        .offset:         16
        .size:           8
        .value_kind:     global_buffer
      - .actual_access:  read_only
        .address_space:  global
        .offset:         24
        .size:           8
        .value_kind:     global_buffer
      - .actual_access:  read_only
        .address_space:  global
        .offset:         32
        .size:           8
        .value_kind:     global_buffer
      - .offset:         40
        .size:           8
        .value_kind:     by_value
      - .address_space:  global
        .offset:         48
        .size:           8
        .value_kind:     global_buffer
      - .address_space:  global
        .offset:         56
        .size:           8
        .value_kind:     global_buffer
      - .address_space:  global
        .offset:         64
        .size:           8
        .value_kind:     global_buffer
      - .address_space:  global
        .offset:         72
        .size:           8
        .value_kind:     global_buffer
      - .offset:         80
        .size:           4
        .value_kind:     by_value
      - .address_space:  global
        .offset:         88
        .size:           8
        .value_kind:     global_buffer
      - .address_space:  global
        .offset:         96
        .size:           8
        .value_kind:     global_buffer
    .group_segment_fixed_size: 12584
    .kernarg_segment_align: 8
    .kernarg_segment_size: 104
    .language:       OpenCL C
    .language_version:
      - 2
      - 0
    .max_flat_workgroup_size: 143
    .name:           bluestein_single_fwd_len1573_dim1_sp_op_CI_CI
    .private_segment_fixed_size: 0
    .sgpr_count:     18
    .sgpr_spill_count: 0
    .symbol:         bluestein_single_fwd_len1573_dim1_sp_op_CI_CI.kd
    .uniform_work_group_size: 1
    .uses_dynamic_stack: false
    .vgpr_count:     172
    .vgpr_spill_count: 0
    .wavefront_size: 32
    .workgroup_processor_mode: 1
amdhsa.target:   amdgcn-amd-amdhsa--gfx1030
amdhsa.version:
  - 1
  - 2
...

	.end_amdgpu_metadata
